;; amdgpu-corpus repo=ROCm/rocFFT kind=compiled arch=gfx1030 opt=O3
	.text
	.amdgcn_target "amdgcn-amd-amdhsa--gfx1030"
	.amdhsa_code_object_version 6
	.protected	bluestein_single_fwd_len1890_dim1_dp_op_CI_CI ; -- Begin function bluestein_single_fwd_len1890_dim1_dp_op_CI_CI
	.globl	bluestein_single_fwd_len1890_dim1_dp_op_CI_CI
	.p2align	8
	.type	bluestein_single_fwd_len1890_dim1_dp_op_CI_CI,@function
bluestein_single_fwd_len1890_dim1_dp_op_CI_CI: ; @bluestein_single_fwd_len1890_dim1_dp_op_CI_CI
; %bb.0:
	s_load_dwordx4 s[8:11], s[4:5], 0x28
	v_mul_u32_u24_e32 v1, 0x209, v0
	s_mov_b64 s[38:39], s[2:3]
	s_mov_b64 s[36:37], s[0:1]
	v_mov_b32_e32 v20, 0
	s_add_u32 s36, s36, s7
	v_lshrrev_b32_e32 v1, 16, v1
	s_addc_u32 s37, s37, 0
	s_mov_b32 s0, exec_lo
	v_add_nc_u32_e32 v19, s6, v1
	s_waitcnt lgkmcnt(0)
	v_cmpx_gt_u64_e64 s[8:9], v[19:20]
	s_cbranch_execz .LBB0_23
; %bb.1:
	s_clause 0x1
	s_load_dwordx4 s[0:3], s[4:5], 0x18
	s_load_dwordx2 s[6:7], s[4:5], 0x0
	v_mul_lo_u16 v1, 0x7e, v1
	v_mov_b32_e32 v20, v19
	v_sub_nc_u16 v2, v0, v1
	v_and_b32_e32 v162, 0xffff, v2
	v_lshlrev_b32_e32 v92, 4, v162
	s_waitcnt lgkmcnt(0)
	s_load_dwordx4 s[12:15], s[0:1], 0x0
	s_clause 0x1
	global_load_dwordx4 v[79:82], v92, s[6:7]
	global_load_dwordx4 v[83:86], v92, s[6:7] offset:2016
	v_add_co_u32 v93, s0, s6, v92
	v_add_co_ci_u32_e64 v94, null, s7, 0, s0
	buffer_store_dword v20, off, s[36:39], 0 offset:84 ; 4-byte Folded Spill
	buffer_store_dword v21, off, s[36:39], 0 offset:88 ; 4-byte Folded Spill
	v_add_co_u32 v0, vcc_lo, 0x3800, v93
	v_add_co_ci_u32_e32 v1, vcc_lo, 0, v94, vcc_lo
	v_add_co_u32 v3, vcc_lo, 0x4000, v93
	v_add_co_ci_u32_e32 v4, vcc_lo, 0, v94, vcc_lo
	v_add_co_u32 v5, vcc_lo, 0x800, v93
	v_add_co_ci_u32_e32 v6, vcc_lo, 0, v94, vcc_lo
	v_add_co_u32 v7, vcc_lo, 0x4800, v93
	s_waitcnt lgkmcnt(0)
	v_mad_u64_u32 v[9:10], null, s14, v19, 0
	v_add_co_ci_u32_e32 v8, vcc_lo, 0, v94, vcc_lo
	v_add_co_u32 v11, vcc_lo, 0x1000, v93
	v_mad_u64_u32 v[13:14], null, s12, v162, 0
	v_add_co_ci_u32_e32 v12, vcc_lo, 0, v94, vcc_lo
	v_add_co_u32 v15, vcc_lo, 0x5000, v93
	v_mad_u64_u32 v[19:20], null, s15, v19, v[10:11]
	s_clause 0x1
	global_load_dwordx4 v[87:90], v[0:1], off offset:784
	global_load_dwordx4 v[127:130], v[3:4], off offset:752
	v_mad_u64_u32 v[0:1], null, s13, v162, v[14:15]
	v_add_co_ci_u32_e32 v16, vcc_lo, 0, v94, vcc_lo
	v_add_co_u32 v17, vcc_lo, 0x1800, v93
	v_mov_b32_e32 v10, v19
	v_add_co_ci_u32_e32 v18, vcc_lo, 0, v94, vcc_lo
	v_mov_b32_e32 v14, v0
	s_mul_i32 s1, s13, 0x3b1
	v_lshlrev_b64 v[0:1], 4, v[9:10]
	s_mul_hi_u32 s7, s12, 0x3b1
	s_mul_i32 s0, s12, 0x3b1
	v_lshlrev_b64 v[3:4], 4, v[13:14]
	s_mul_hi_u32 s9, s12, 0xfffffccd
	s_add_i32 s1, s7, s1
	v_add_co_u32 v0, vcc_lo, s10, v0
	v_add_co_ci_u32_e32 v1, vcc_lo, s11, v1, vcc_lo
	s_mul_i32 s8, s13, 0xfffffccd
	v_add_co_u32 v0, vcc_lo, v0, v3
	v_add_co_ci_u32_e32 v1, vcc_lo, v1, v4, vcc_lo
	s_mul_i32 s6, s12, 0xfffffccd
	s_sub_i32 s7, s9, s12
	s_lshl_b64 s[12:13], s[0:1], 4
	s_add_i32 s7, s7, s8
	v_add_co_u32 v9, vcc_lo, v0, s12
	v_add_co_ci_u32_e32 v10, vcc_lo, s13, v1, vcc_lo
	s_lshl_b64 s[0:1], s[6:7], 4
	s_clause 0x1
	global_load_dwordx4 v[119:122], v[5:6], off offset:1984
	global_load_dwordx4 v[123:126], v[7:8], off offset:720
	v_add_co_u32 v13, vcc_lo, v9, s0
	v_add_co_ci_u32_e32 v14, vcc_lo, s1, v10, vcc_lo
	s_clause 0x1
	global_load_dwordx4 v[115:118], v[11:12], off offset:1952
	global_load_dwordx4 v[111:114], v[15:16], off offset:688
	v_add_co_u32 v19, vcc_lo, v13, s12
	v_add_co_ci_u32_e32 v20, vcc_lo, s13, v14, vcc_lo
	global_load_dwordx4 v[107:110], v[17:18], off offset:1920
	s_clause 0x3
	global_load_dwordx4 v[3:6], v[0:1], off
	global_load_dwordx4 v[7:10], v[9:10], off
	;; [unrolled: 1-line block ×4, first 2 shown]
	v_add_co_u32 v21, vcc_lo, v19, s0
	v_add_co_ci_u32_e32 v22, vcc_lo, s1, v20, vcc_lo
	v_add_co_u32 v23, vcc_lo, v21, s12
	v_add_co_ci_u32_e32 v24, vcc_lo, s13, v22, vcc_lo
	;; [unrolled: 2-line block ×5, first 2 shown]
	global_load_dwordx4 v[19:22], v[21:22], off
	global_load_dwordx4 v[23:26], v[23:24], off
	;; [unrolled: 1-line block ×5, first 2 shown]
	v_add_co_u32 v0, vcc_lo, v39, s12
	v_add_co_ci_u32_e32 v1, vcc_lo, s13, v40, vcc_lo
	v_add_co_u32 v43, vcc_lo, 0x5800, v93
	v_add_co_ci_u32_e32 v44, vcc_lo, 0, v94, vcc_lo
	;; [unrolled: 2-line block ×6, first 2 shown]
	global_load_dwordx4 v[39:42], v[0:1], off
	global_load_dwordx4 v[135:138], v[43:44], off offset:656
	global_load_dwordx4 v[43:46], v[45:46], off
	global_load_dwordx4 v[131:134], v[47:48], off offset:1888
	global_load_dwordx4 v[47:50], v[51:52], off
	v_add_co_u32 v51, vcc_lo, v51, s0
	v_add_co_ci_u32_e32 v52, vcc_lo, s1, v52, vcc_lo
	v_add_co_u32 v55, vcc_lo, 0x2800, v93
	v_add_co_ci_u32_e32 v56, vcc_lo, 0, v94, vcc_lo
	;; [unrolled: 2-line block ×4, first 2 shown]
	global_load_dwordx4 v[139:142], v[53:54], off offset:624
	global_load_dwordx4 v[51:54], v[51:52], off
	s_clause 0x1
	global_load_dwordx4 v[143:146], v[55:56], off offset:1856
	global_load_dwordx4 v[147:150], v[57:58], off offset:592
	global_load_dwordx4 v[55:58], v[0:1], off
	v_cmp_gt_u16_e32 vcc_lo, 63, v2
	s_waitcnt vmcnt(18)
	v_mul_f64 v[59:60], v[5:6], v[81:82]
	s_waitcnt vmcnt(17)
	v_mul_f64 v[63:64], v[9:10], v[89:90]
	;; [unrolled: 2-line block ×3, first 2 shown]
	v_mul_f64 v[61:62], v[3:4], v[81:82]
	v_mul_f64 v[65:66], v[7:8], v[89:90]
	;; [unrolled: 1-line block ×3, first 2 shown]
	s_waitcnt vmcnt(15)
	v_mul_f64 v[71:72], v[17:18], v[129:130]
	v_mul_f64 v[73:74], v[15:16], v[129:130]
	v_fma_f64 v[3:4], v[3:4], v[79:80], v[59:60]
	buffer_store_dword v79, off, s[36:39], 0 offset:92 ; 4-byte Folded Spill
	buffer_store_dword v80, off, s[36:39], 0 offset:96 ; 4-byte Folded Spill
	buffer_store_dword v81, off, s[36:39], 0 offset:100 ; 4-byte Folded Spill
	buffer_store_dword v82, off, s[36:39], 0 offset:104 ; 4-byte Folded Spill
	v_fma_f64 v[7:8], v[7:8], v[87:88], v[63:64]
	buffer_store_dword v87, off, s[36:39], 0 offset:220 ; 4-byte Folded Spill
	buffer_store_dword v88, off, s[36:39], 0 offset:224 ; 4-byte Folded Spill
	buffer_store_dword v89, off, s[36:39], 0 offset:228 ; 4-byte Folded Spill
	buffer_store_dword v90, off, s[36:39], 0 offset:232 ; 4-byte Folded Spill
	;; [unrolled: 5-line block ×3, first 2 shown]
	s_waitcnt vmcnt(14)
	v_mul_f64 v[75:76], v[21:22], v[121:122]
	s_waitcnt vmcnt(13)
	v_mul_f64 v[59:60], v[25:26], v[125:126]
	;; [unrolled: 2-line block ×4, first 2 shown]
	v_mul_f64 v[77:78], v[19:20], v[121:122]
	s_waitcnt vmcnt(10)
	v_mul_f64 v[81:82], v[35:36], v[109:110]
	v_fma_f64 v[15:16], v[15:16], v[127:128], v[71:72]
	buffer_store_dword v127, off, s[36:39], 0 offset:204 ; 4-byte Folded Spill
	buffer_store_dword v128, off, s[36:39], 0 offset:208 ; 4-byte Folded Spill
	;; [unrolled: 1-line block ×4, first 2 shown]
	s_waitcnt vmcnt(8)
	v_mul_f64 v[85:86], v[39:40], v[137:138]
	v_fma_f64 v[19:20], v[19:20], v[119:120], v[75:76]
	s_waitcnt vmcnt(6)
	v_mul_f64 v[89:90], v[43:44], v[133:134]
	buffer_store_dword v119, off, s[36:39], 0 offset:172 ; 4-byte Folded Spill
	buffer_store_dword v120, off, s[36:39], 0 offset:176 ; 4-byte Folded Spill
	;; [unrolled: 1-line block ×4, first 2 shown]
	s_waitcnt vmcnt(4)
	v_mul_f64 v[95:96], v[49:50], v[141:142]
	v_mul_f64 v[97:98], v[47:48], v[141:142]
	s_waitcnt vmcnt(2)
	v_mul_f64 v[99:100], v[53:54], v[145:146]
	v_mul_f64 v[101:102], v[51:52], v[145:146]
	;; [unrolled: 3-line block ×3, first 2 shown]
	v_fma_f64 v[47:48], v[47:48], v[139:140], v[95:96]
	v_fma_f64 v[51:52], v[51:52], v[143:144], v[99:100]
	;; [unrolled: 1-line block ×3, first 2 shown]
	v_fma_f64 v[5:6], v[5:6], v[79:80], -v[61:62]
	v_mul_f64 v[79:80], v[37:38], v[109:110]
	v_fma_f64 v[9:10], v[9:10], v[87:88], -v[65:66]
	v_mul_f64 v[87:88], v[45:46], v[133:134]
	;; [unrolled: 2-line block ×3, first 2 shown]
	v_mul_f64 v[61:62], v[23:24], v[125:126]
	v_mul_f64 v[65:66], v[27:28], v[117:118]
	;; [unrolled: 1-line block ×3, first 2 shown]
	v_fma_f64 v[23:24], v[23:24], v[123:124], v[59:60]
	buffer_store_dword v123, off, s[36:39], 0 offset:188 ; 4-byte Folded Spill
	buffer_store_dword v124, off, s[36:39], 0 offset:192 ; 4-byte Folded Spill
	buffer_store_dword v125, off, s[36:39], 0 offset:196 ; 4-byte Folded Spill
	buffer_store_dword v126, off, s[36:39], 0 offset:200 ; 4-byte Folded Spill
	v_fma_f64 v[27:28], v[27:28], v[115:116], v[63:64]
	buffer_store_dword v115, off, s[36:39], 0 offset:156 ; 4-byte Folded Spill
	buffer_store_dword v116, off, s[36:39], 0 offset:160 ; 4-byte Folded Spill
	buffer_store_dword v117, off, s[36:39], 0 offset:164 ; 4-byte Folded Spill
	buffer_store_dword v118, off, s[36:39], 0 offset:168 ; 4-byte Folded Spill
	;; [unrolled: 5-line block ×3, first 2 shown]
	v_fma_f64 v[17:18], v[17:18], v[127:128], -v[73:74]
	v_fma_f64 v[35:36], v[35:36], v[107:108], v[79:80]
	buffer_store_dword v107, off, s[36:39], 0 offset:124 ; 4-byte Folded Spill
	buffer_store_dword v108, off, s[36:39], 0 offset:128 ; 4-byte Folded Spill
	;; [unrolled: 1-line block ×4, first 2 shown]
	v_fma_f64 v[43:44], v[43:44], v[131:132], v[87:88]
	v_fma_f64 v[39:40], v[39:40], v[135:136], v[83:84]
	buffer_store_dword v135, off, s[36:39], 0 offset:252 ; 4-byte Folded Spill
	buffer_store_dword v136, off, s[36:39], 0 offset:256 ; 4-byte Folded Spill
	;; [unrolled: 1-line block ×20, first 2 shown]
	s_load_dwordx2 s[6:7], s[4:5], 0x38
	s_load_dwordx4 s[8:11], s[2:3], 0x0
	v_fma_f64 v[21:22], v[21:22], v[119:120], -v[77:78]
	v_fma_f64 v[25:26], v[25:26], v[123:124], -v[61:62]
	;; [unrolled: 1-line block ×10, first 2 shown]
	ds_write_b128 v92, v[3:6]
	ds_write_b128 v92, v[7:10] offset:15120
	ds_write_b128 v92, v[11:14] offset:2016
	ds_write_b128 v92, v[15:18] offset:17136
	ds_write_b128 v92, v[19:22] offset:4032
	ds_write_b128 v92, v[23:26] offset:19152
	ds_write_b128 v92, v[27:30] offset:6048
	ds_write_b128 v92, v[31:34] offset:21168
	ds_write_b128 v92, v[35:38] offset:8064
	ds_write_b128 v92, v[39:42] offset:23184
	ds_write_b128 v92, v[43:46] offset:10080
	ds_write_b128 v92, v[47:50] offset:25200
	ds_write_b128 v92, v[51:54] offset:12096
	ds_write_b128 v92, v[55:58] offset:27216
	s_and_saveexec_b32 s2, vcc_lo
	s_cbranch_execz .LBB0_3
; %bb.2:
	v_add_co_u32 v0, s0, v0, s0
	v_add_co_ci_u32_e64 v1, s0, s1, v1, s0
	v_add_co_u32 v4, s0, 0x3000, v93
	v_add_co_ci_u32_e64 v5, s0, 0, v94, s0
	;; [unrolled: 2-line block ×4, first 2 shown]
	global_load_dwordx4 v[0:3], v[0:1], off
	s_clause 0x1
	global_load_dwordx4 v[4:7], v[4:5], off offset:1824
	global_load_dwordx4 v[8:11], v[8:9], off offset:560
	global_load_dwordx4 v[12:15], v[12:13], off
	s_waitcnt vmcnt(2)
	v_mul_f64 v[16:17], v[2:3], v[6:7]
	v_mul_f64 v[6:7], v[0:1], v[6:7]
	s_waitcnt vmcnt(0)
	v_mul_f64 v[18:19], v[14:15], v[10:11]
	v_mul_f64 v[10:11], v[12:13], v[10:11]
	v_fma_f64 v[0:1], v[0:1], v[4:5], v[16:17]
	v_fma_f64 v[2:3], v[2:3], v[4:5], -v[6:7]
	v_fma_f64 v[4:5], v[12:13], v[8:9], v[18:19]
	v_fma_f64 v[6:7], v[14:15], v[8:9], -v[10:11]
	ds_write_b128 v92, v[0:3] offset:14112
	ds_write_b128 v92, v[4:7] offset:29232
.LBB0_3:
	s_or_b32 exec_lo, exec_lo, s2
	s_waitcnt lgkmcnt(0)
	s_waitcnt_vscnt null, 0x0
	s_barrier
	buffer_gl0_inv
	ds_read_b128 v[8:11], v92
	ds_read_b128 v[12:15], v92 offset:2016
	ds_read_b128 v[56:59], v92 offset:17136
	;; [unrolled: 1-line block ×13, first 2 shown]
	s_load_dwordx2 s[2:3], s[4:5], 0x8
                                        ; implicit-def: $vgpr4_vgpr5
                                        ; implicit-def: $vgpr32_vgpr33
	s_and_saveexec_b32 s0, vcc_lo
	s_cbranch_execz .LBB0_5
; %bb.4:
	ds_read_b128 v[4:7], v92 offset:14112
	ds_read_b128 v[32:35], v92 offset:29232
.LBB0_5:
	s_or_b32 exec_lo, exec_lo, s0
	s_waitcnt lgkmcnt(0)
	v_add_f64 v[60:61], v[8:9], -v[60:61]
	v_add_f64 v[62:63], v[10:11], -v[62:63]
	;; [unrolled: 1-line block ×14, first 2 shown]
	v_add_co_u32 v196, s0, 0x7e, v162
	v_add_co_ci_u32_e64 v64, null, 0, 0, s0
	v_add_co_u32 v128, s0, 0x17a, v162
	v_add_co_ci_u32_e64 v64, null, 0, 0, s0
	v_fma_f64 v[8:9], v[8:9], 2.0, -v[60:61]
	v_fma_f64 v[10:11], v[10:11], 2.0, -v[62:63]
	;; [unrolled: 1-line block ×8, first 2 shown]
	v_add_co_u32 v136, s0, 0x1f8, v162
	v_add_co_ci_u32_e64 v64, null, 0, 0, s0
	v_fma_f64 v[24:25], v[24:25], 2.0, -v[40:41]
	v_fma_f64 v[26:27], v[26:27], 2.0, -v[42:43]
	v_fma_f64 v[64:65], v[0:1], 2.0, -v[36:37]
	v_fma_f64 v[66:67], v[2:3], 2.0, -v[38:39]
	v_add_f64 v[0:1], v[4:5], -v[32:33]
	v_add_f64 v[2:3], v[6:7], -v[34:35]
	v_fma_f64 v[28:29], v[28:29], 2.0, -v[44:45]
	v_fma_f64 v[30:31], v[30:31], 2.0, -v[46:47]
	v_lshlrev_b16 v69, 1, v162
	v_mov_b32_e32 v144, 4
	v_add_co_u32 v224, null, 0xfc, v162
	v_add_co_u32 v68, null, 0x372, v162
	v_lshlrev_b32_sdwa v32, v144, v69 dst_sel:DWORD dst_unused:UNUSED_PAD src0_sel:DWORD src1_sel:WORD_0
	s_barrier
	v_lshlrev_b32_e32 v33, 5, v196
	buffer_gl0_inv
	ds_write_b128 v32, v[8:11]
	v_lshlrev_b32_e32 v8, 5, v224
	v_lshlrev_b32_e32 v9, 5, v128
	;; [unrolled: 1-line block ×3, first 2 shown]
	buffer_store_dword v32, off, s[36:39], 0 offset:316 ; 4-byte Folded Spill
	ds_write_b128 v32, v[60:63] offset:16
	ds_write_b128 v33, v[12:15]
	buffer_store_dword v33, off, s[36:39], 0 offset:320 ; 4-byte Folded Spill
	ds_write_b128 v33, v[56:59] offset:16
	v_lshlrev_b32_e32 v10, 5, v136
	ds_write_b128 v8, v[20:23]
	buffer_store_dword v8, off, s[36:39], 0 offset:324 ; 4-byte Folded Spill
	ds_write_b128 v8, v[52:55] offset:16
	ds_write_b128 v9, v[16:19]
	v_lshlrev_b32_e32 v8, 5, v68
	buffer_store_dword v9, off, s[36:39], 0 offset:328 ; 4-byte Folded Spill
	ds_write_b128 v9, v[48:51] offset:16
	ds_write_b128 v10, v[28:31]
	buffer_store_dword v10, off, s[36:39], 0 offset:336 ; 4-byte Folded Spill
	ds_write_b128 v10, v[44:47] offset:16
	buffer_store_dword v8, off, s[36:39], 0 offset:332 ; 4-byte Folded Spill
	ds_write_b128 v70, v[24:27] offset:20160
	ds_write_b128 v70, v[40:43] offset:20176
	;; [unrolled: 1-line block ×3, first 2 shown]
	buffer_store_dword v70, off, s[36:39], 0 offset:468 ; 4-byte Folded Spill
	ds_write_b128 v70, v[36:39] offset:24208
	s_and_saveexec_b32 s0, vcc_lo
	s_cbranch_execz .LBB0_7
; %bb.6:
	buffer_load_dword v8, off, s[36:39], 0 offset:332 ; 4-byte Folded Reload
	v_fma_f64 v[6:7], v[6:7], 2.0, -v[2:3]
	v_fma_f64 v[4:5], v[4:5], 2.0, -v[0:1]
	s_waitcnt vmcnt(0)
	ds_write_b128 v8, v[4:7]
	ds_write_b128 v8, v[0:3] offset:16
.LBB0_7:
	s_or_b32 exec_lo, exec_lo, s0
	v_and_b32_e32 v72, 1, v162
	s_waitcnt lgkmcnt(0)
	s_waitcnt_vscnt null, 0x0
	s_barrier
	buffer_gl0_inv
	v_lshrrev_b32_e32 v73, 1, v162
	v_lshlrev_b32_e32 v4, 5, v72
	v_lshrrev_b32_e32 v74, 1, v196
	v_lshrrev_b32_e32 v75, 1, v224
	;; [unrolled: 1-line block ×3, first 2 shown]
	v_mul_u32_u24_e32 v73, 6, v73
	s_clause 0x1
	global_load_dwordx4 v[60:63], v4, s[2:3]
	global_load_dwordx4 v[56:59], v4, s[2:3] offset:16
	ds_read_b128 v[16:19], v92 offset:20160
	ds_read_b128 v[12:15], v92 offset:22176
	;; [unrolled: 1-line block ×9, first 2 shown]
	ds_read_b128 v[32:35], v92
	ds_read_b128 v[44:47], v92 offset:2016
	ds_read_b128 v[48:51], v92 offset:4032
	;; [unrolled: 1-line block ×5, first 2 shown]
	v_mul_u32_u24_e32 v74, 6, v74
	v_mul_u32_u24_e32 v75, 6, v75
	;; [unrolled: 1-line block ×3, first 2 shown]
	v_or_b32_e32 v91, v73, v72
	v_and_b32_e32 v145, 0xff, v162
	v_or_b32_e32 v117, v74, v72
	v_or_b32_e32 v118, v75, v72
	;; [unrolled: 1-line block ×3, first 2 shown]
	v_lshrrev_b32_e32 v77, 1, v136
	v_and_b32_e32 v95, 0xff, v196
	v_mov_b32_e32 v125, 0xaaab
	v_mul_lo_u16 v78, 0xab, v145
	v_lshlrev_b32_e32 v132, 4, v91
	v_mul_u32_u24_e32 v77, 6, v77
	v_mul_lo_u16 v79, 0xab, v95
	v_mul_u32_u24_sdwa v89, v224, v125 dst_sel:DWORD dst_unused:UNUSED_PAD src0_sel:WORD_0 src1_sel:DWORD
	v_lshrrev_b16 v98, 10, v78
	v_lshlrev_b32_e32 v131, 4, v117
	v_or_b32_e32 v127, v77, v72
	v_lshrrev_b16 v97, 10, v79
	v_lshrrev_b32_e32 v96, 18, v89
	v_mul_lo_u16 v119, v98, 6
	v_lshlrev_b32_e32 v130, 4, v118
	s_mov_b32 s0, 0xe8584caa
	s_mov_b32 s1, 0x3febb67a
	;; [unrolled: 1-line block ×3, first 2 shown]
	v_sub_nc_u16 v129, v162, v119
	s_mov_b32 s4, s0
	s_waitcnt vmcnt(0) lgkmcnt(0)
	s_barrier
	buffer_gl0_inv
	v_mul_f64 v[73:74], v[70:71], v[62:63]
	v_mul_f64 v[75:76], v[68:69], v[62:63]
	;; [unrolled: 1-line block ×18, first 2 shown]
	v_fma_f64 v[68:69], v[68:69], v[60:61], -v[73:74]
	v_fma_f64 v[70:71], v[70:71], v[60:61], v[75:76]
	v_mul_f64 v[72:73], v[42:43], v[58:59]
	v_mul_f64 v[74:75], v[40:41], v[58:59]
	v_fma_f64 v[16:17], v[16:17], v[56:57], -v[77:78]
	v_fma_f64 v[18:19], v[18:19], v[56:57], v[79:80]
	v_fma_f64 v[20:21], v[20:21], v[60:61], -v[81:82]
	v_fma_f64 v[12:13], v[12:13], v[56:57], -v[83:84]
	v_fma_f64 v[22:23], v[22:23], v[60:61], v[85:86]
	v_fma_f64 v[14:15], v[14:15], v[56:57], v[87:88]
	v_fma_f64 v[4:5], v[4:5], v[60:61], -v[89:90]
	v_fma_f64 v[6:7], v[6:7], v[60:61], v[99:100]
	v_fma_f64 v[76:77], v[8:9], v[56:57], -v[101:102]
	;; [unrolled: 2-line block ×5, first 2 shown]
	v_fma_f64 v[30:31], v[38:39], v[60:61], v[115:116]
	v_add_f64 v[80:81], v[34:35], v[70:71]
	v_fma_f64 v[36:37], v[40:41], v[56:57], -v[72:73]
	v_fma_f64 v[38:39], v[42:43], v[56:57], v[74:75]
	v_add_f64 v[40:41], v[68:69], v[16:17]
	v_add_f64 v[42:43], v[70:71], v[18:19]
	v_add_f64 v[72:73], v[32:33], v[68:69]
	v_add_f64 v[74:75], v[20:21], v[12:13]
	v_add_f64 v[84:85], v[44:45], v[20:21]
	v_add_f64 v[82:83], v[22:23], v[14:15]
	v_add_f64 v[86:87], v[46:47], v[22:23]
	v_add_f64 v[88:89], v[22:23], -v[14:15]
	v_add_f64 v[90:91], v[20:21], -v[12:13]
	v_add_f64 v[20:21], v[4:5], v[76:77]
	v_add_f64 v[22:23], v[6:7], v[78:79]
	v_add_f64 v[70:71], v[70:71], -v[18:19]
	v_add_f64 v[105:106], v[8:9], v[24:25]
	v_add_f64 v[107:108], v[10:11], v[26:27]
	;; [unrolled: 3-line block ×3, first 2 shown]
	v_add_f64 v[103:104], v[6:7], -v[78:79]
	v_add_f64 v[4:5], v[4:5], -v[76:77]
	v_add_f64 v[109:110], v[54:55], v[10:11]
	v_add_f64 v[113:114], v[28:29], v[36:37]
	;; [unrolled: 1-line block ×4, first 2 shown]
	v_fma_f64 v[32:33], v[40:41], -0.5, v[32:33]
	v_fma_f64 v[34:35], v[42:43], -0.5, v[34:35]
	v_add_f64 v[40:41], v[66:67], v[30:31]
	v_add_f64 v[42:43], v[64:65], v[28:29]
	v_add_f64 v[117:118], v[10:11], -v[26:27]
	v_add_f64 v[119:120], v[8:9], -v[24:25]
	v_add_f64 v[121:122], v[30:31], -v[38:39]
	v_add_f64 v[123:124], v[28:29], -v[36:37]
	v_fma_f64 v[44:45], v[74:75], -0.5, v[44:45]
	v_fma_f64 v[46:47], v[82:83], -0.5, v[46:47]
	v_add_f64 v[6:7], v[72:73], v[16:17]
	v_fma_f64 v[48:49], v[20:21], -0.5, v[48:49]
	v_fma_f64 v[50:51], v[22:23], -0.5, v[50:51]
	;; [unrolled: 1-line block ×4, first 2 shown]
	v_add_f64 v[8:9], v[80:81], v[18:19]
	v_add_f64 v[10:11], v[84:85], v[12:13]
	;; [unrolled: 1-line block ×4, first 2 shown]
	v_fma_f64 v[72:73], v[113:114], -0.5, v[64:65]
	v_fma_f64 v[74:75], v[115:116], -0.5, v[66:67]
	v_add_f64 v[18:19], v[111:112], v[24:25]
	v_fma_f64 v[26:27], v[70:71], s[0:1], v[32:33]
	v_fma_f64 v[30:31], v[70:71], s[4:5], v[32:33]
	v_add_f64 v[24:25], v[40:41], v[38:39]
	v_add_f64 v[22:23], v[42:43], v[36:37]
	v_fma_f64 v[28:29], v[68:69], s[4:5], v[34:35]
	v_fma_f64 v[32:33], v[68:69], s[0:1], v[34:35]
	v_add_f64 v[16:17], v[99:100], v[78:79]
	v_add_f64 v[14:15], v[101:102], v[76:77]
	v_fma_f64 v[38:39], v[88:89], s[4:5], v[44:45]
	v_fma_f64 v[36:37], v[90:91], s[4:5], v[46:47]
	;; [unrolled: 1-line block ×16, first 2 shown]
	v_and_b32_e32 v5, 0xff, v129
	v_lshlrev_b32_e32 v77, 4, v126
	v_lshlrev_b32_e32 v76, 4, v127
	ds_write_b128 v132, v[6:9]
	ds_write_b128 v132, v[26:29] offset:32
	buffer_store_dword v132, off, s[36:39], 0 offset:504 ; 4-byte Folded Spill
	v_lshlrev_b32_e32 v55, 5, v5
	ds_write_b128 v132, v[30:33] offset:64
	ds_write_b128 v131, v[10:13]
	ds_write_b128 v131, v[34:37] offset:32
	buffer_store_dword v131, off, s[36:39], 0 offset:488 ; 4-byte Folded Spill
	ds_write_b128 v131, v[38:41] offset:64
	ds_write_b128 v130, v[14:17]
	ds_write_b128 v130, v[42:45] offset:32
	buffer_store_dword v130, off, s[36:39], 0 offset:472 ; 4-byte Folded Spill
	;; [unrolled: 4-line block ×4, first 2 shown]
	ds_write_b128 v76, v[72:75] offset:64
	s_waitcnt lgkmcnt(0)
	s_waitcnt_vscnt null, 0x0
	s_barrier
	buffer_gl0_inv
	s_clause 0x1
	global_load_dwordx4 v[72:75], v55, s[2:3] offset:64
	global_load_dwordx4 v[86:89], v55, s[2:3] offset:80
	v_mul_lo_u16 v4, v96, 6
	v_mul_lo_u16 v54, v97, 6
	v_mul_u32_u24_sdwa v6, v128, v125 dst_sel:DWORD dst_unused:UNUSED_PAD src0_sel:WORD_0 src1_sel:DWORD
	v_sub_nc_u16 v4, v224, v4
	v_sub_nc_u16 v8, v196, v54
	v_lshrrev_b32_e32 v7, 18, v6
	v_lshlrev_b16 v9, 5, v4
	v_and_b32_e32 v6, 0xff, v8
	v_mad_u16 v4, v96, 18, v4
	v_and_b32_e32 v8, 0xffff, v9
	v_mul_lo_u16 v9, v7, 6
	v_lshlrev_b32_e32 v12, 5, v6
	v_add_co_u32 v10, s12, s2, v8
	v_add_co_ci_u32_e64 v11, null, s3, 0, s12
	v_sub_nc_u16 v9, v128, v9
	s_clause 0x3
	global_load_dwordx4 v[103:106], v12, s[2:3] offset:64
	global_load_dwordx4 v[99:102], v12, s[2:3] offset:80
	global_load_dwordx4 v[82:85], v[10:11], off offset:64
	global_load_dwordx4 v[78:81], v[10:11], off offset:80
	v_mul_u32_u24_sdwa v10, v136, v125 dst_sel:DWORD dst_unused:UNUSED_PAD src0_sel:WORD_0 src1_sel:DWORD
	v_lshlrev_b16 v8, 5, v9
	v_mad_u16 v7, v7, 18, v9
	v_mul_lo_u16 v9, v95, 57
	v_lshrrev_b32_e32 v64, 18, v10
	v_and_b32_e32 v8, 0xffff, v8
	v_lshrrev_b16 v9, 10, v9
	v_add_co_u32 v10, s12, s2, v8
	v_mul_lo_u16 v8, v64, 6
	v_add_co_ci_u32_e64 v11, null, s3, 0, s12
	v_sub_nc_u16 v65, v136, v8
	s_clause 0x1
	global_load_dwordx4 v[107:110], v[10:11], off offset:64
	global_load_dwordx4 v[120:123], v[10:11], off offset:80
	v_lshlrev_b16 v8, 5, v65
	v_and_b32_e32 v8, 0xffff, v8
	v_add_co_u32 v10, s12, s2, v8
	v_add_co_ci_u32_e64 v11, null, s3, 0, s12
	s_clause 0x1
	global_load_dwordx4 v[116:119], v[10:11], off offset:64
	global_load_dwordx4 v[112:115], v[10:11], off offset:80
	ds_read_b128 v[10:13], v92 offset:10080
	ds_read_b128 v[14:17], v92 offset:20160
	;; [unrolled: 1-line block ×8, first 2 shown]
	v_mov_b32_e32 v8, 18
	s_waitcnt vmcnt(9) lgkmcnt(7)
	v_mul_f64 v[42:43], v[12:13], v[74:75]
	v_mul_f64 v[44:45], v[10:11], v[74:75]
	s_waitcnt vmcnt(8) lgkmcnt(6)
	v_mul_f64 v[46:47], v[16:17], v[88:89]
	v_mul_f64 v[48:49], v[14:15], v[88:89]
	v_fma_f64 v[42:43], v[10:11], v[72:73], -v[42:43]
	buffer_store_dword v72, off, s[36:39], 0 offset:340 ; 4-byte Folded Spill
	buffer_store_dword v73, off, s[36:39], 0 offset:344 ; 4-byte Folded Spill
	;; [unrolled: 1-line block ×4, first 2 shown]
	v_fma_f64 v[46:47], v[14:15], v[86:87], -v[46:47]
	s_waitcnt vmcnt(7) lgkmcnt(4)
	v_mul_f64 v[50:51], v[24:25], v[105:106]
	s_waitcnt vmcnt(6)
	v_mul_f64 v[54:55], v[20:21], v[101:102]
	s_waitcnt vmcnt(5) lgkmcnt(3)
	v_mul_f64 v[70:71], v[28:29], v[84:85]
	v_mul_f64 v[52:53], v[22:23], v[105:106]
	s_waitcnt vmcnt(4) lgkmcnt(1)
	v_mul_f64 v[74:75], v[36:37], v[80:81]
	v_mul_f64 v[68:69], v[18:19], v[101:102]
	;; [unrolled: 1-line block ×3, first 2 shown]
	v_fma_f64 v[50:51], v[22:23], v[103:104], -v[50:51]
	v_fma_f64 v[54:55], v[18:19], v[99:100], -v[54:55]
	;; [unrolled: 1-line block ×4, first 2 shown]
	v_fma_f64 v[44:45], v[12:13], v[72:73], v[44:45]
	ds_read_b128 v[10:13], v92 offset:16128
	buffer_store_dword v86, off, s[36:39], 0 offset:388 ; 4-byte Folded Spill
	buffer_store_dword v87, off, s[36:39], 0 offset:392 ; 4-byte Folded Spill
	buffer_store_dword v88, off, s[36:39], 0 offset:396 ; 4-byte Folded Spill
	buffer_store_dword v89, off, s[36:39], 0 offset:400 ; 4-byte Folded Spill
	buffer_store_dword v103, off, s[36:39], 0 offset:420 ; 4-byte Folded Spill
	buffer_store_dword v104, off, s[36:39], 0 offset:424 ; 4-byte Folded Spill
	buffer_store_dword v105, off, s[36:39], 0 offset:428 ; 4-byte Folded Spill
	buffer_store_dword v106, off, s[36:39], 0 offset:432 ; 4-byte Folded Spill
	v_mul_f64 v[72:73], v[26:27], v[84:85]
	s_waitcnt vmcnt(2) lgkmcnt(1)
	v_mul_f64 v[26:27], v[40:41], v[122:123]
	s_waitcnt lgkmcnt(0)
	v_mul_f64 v[22:23], v[12:13], v[109:110]
	v_fma_f64 v[48:49], v[16:17], v[86:87], v[48:49]
	ds_read_b128 v[14:17], v92 offset:18144
	buffer_store_dword v99, off, s[36:39], 0 offset:404 ; 4-byte Folded Spill
	buffer_store_dword v100, off, s[36:39], 0 offset:408 ; 4-byte Folded Spill
	;; [unrolled: 1-line block ×12, first 2 shown]
	v_fma_f64 v[52:53], v[24:25], v[103:104], v[52:53]
	v_mul_f64 v[24:25], v[10:11], v[109:110]
	v_fma_f64 v[101:102], v[38:39], v[120:121], -v[26:27]
	v_add_f64 v[26:27], v[42:43], -v[46:47]
	v_fma_f64 v[68:69], v[20:21], v[99:100], v[68:69]
	ds_read_b128 v[18:21], v92 offset:28224
	v_fma_f64 v[76:77], v[36:37], v[78:79], v[76:77]
	v_fma_f64 v[78:79], v[10:11], v[107:108], -v[22:23]
	buffer_store_dword v107, off, s[36:39], 0 offset:436 ; 4-byte Folded Spill
	buffer_store_dword v108, off, s[36:39], 0 offset:440 ; 4-byte Folded Spill
	;; [unrolled: 1-line block ×4, first 2 shown]
	v_fma_f64 v[72:73], v[28:29], v[82:83], v[72:73]
	v_mul_f64 v[28:29], v[38:39], v[122:123]
	buffer_store_dword v120, off, s[36:39], 0 offset:452 ; 4-byte Folded Spill
	buffer_store_dword v121, off, s[36:39], 0 offset:456 ; 4-byte Folded Spill
	;; [unrolled: 1-line block ×4, first 2 shown]
	s_waitcnt vmcnt(1) lgkmcnt(1)
	v_mul_f64 v[10:11], v[16:17], v[118:119]
	v_add_f64 v[38:39], v[50:51], -v[54:55]
	s_waitcnt vmcnt(0) lgkmcnt(0)
	v_mul_f64 v[22:23], v[20:21], v[114:115]
	v_add_f64 v[34:35], v[52:53], -v[68:69]
	v_fma_f64 v[99:100], v[12:13], v[107:108], v[24:25]
	v_mul_f64 v[12:13], v[14:15], v[118:119]
	v_mul_f64 v[24:25], v[18:19], v[114:115]
	v_fma_f64 v[103:104], v[40:41], v[120:121], v[28:29]
	v_fma_f64 v[120:121], v[18:19], v[112:113], -v[22:23]
	v_add_f64 v[18:19], v[42:43], v[46:47]
	v_fma_f64 v[107:108], v[14:15], v[116:117], -v[10:11]
	v_add_f64 v[22:23], v[44:45], -v[48:49]
	v_fma_f64 v[109:110], v[16:17], v[116:117], v[12:13]
	ds_read_b128 v[10:13], v92
	ds_read_b128 v[14:17], v92 offset:2016
	v_fma_f64 v[122:123], v[20:21], v[112:113], v[24:25]
	s_waitcnt lgkmcnt(1)
	v_fma_f64 v[20:21], v[18:19], -0.5, v[10:11]
	v_add_f64 v[18:19], v[44:45], v[48:49]
	v_add_f64 v[10:11], v[10:11], v[42:43]
	v_fma_f64 v[24:25], v[18:19], -0.5, v[12:13]
	v_fma_f64 v[18:19], v[22:23], s[0:1], v[20:21]
	v_fma_f64 v[22:23], v[22:23], s[4:5], v[20:21]
	v_add_f64 v[12:13], v[12:13], v[44:45]
	v_add_f64 v[10:11], v[10:11], v[46:47]
	;; [unrolled: 1-line block ×3, first 2 shown]
	v_fma_f64 v[20:21], v[26:27], s[4:5], v[24:25]
	v_fma_f64 v[24:25], v[26:27], s[0:1], v[24:25]
	v_add_f64 v[26:27], v[50:51], v[54:55]
	v_add_f64 v[12:13], v[12:13], v[48:49]
	s_waitcnt lgkmcnt(0)
	v_fma_f64 v[28:29], v[26:27], -0.5, v[14:15]
	v_add_f64 v[26:27], v[52:53], v[68:69]
	v_add_f64 v[14:15], v[14:15], v[50:51]
	v_add_f64 v[50:51], v[72:73], -v[76:77]
	v_fma_f64 v[36:37], v[26:27], -0.5, v[16:17]
	v_fma_f64 v[26:27], v[34:35], s[0:1], v[28:29]
	v_fma_f64 v[34:35], v[34:35], s[4:5], v[28:29]
	v_add_f64 v[16:17], v[16:17], v[52:53]
	v_add_f64 v[14:15], v[14:15], v[54:55]
	v_add_f64 v[54:55], v[70:71], -v[74:75]
	v_fma_f64 v[28:29], v[38:39], s[4:5], v[36:37]
	v_fma_f64 v[36:37], v[38:39], s[0:1], v[36:37]
	ds_read_b128 v[38:41], v92 offset:4032
	ds_read_b128 v[42:45], v92 offset:6048
	v_add_f64 v[16:17], v[16:17], v[68:69]
	v_add_f64 v[68:69], v[99:100], v[103:104]
	s_waitcnt lgkmcnt(0)
	s_waitcnt_vscnt null, 0x0
	s_barrier
	buffer_gl0_inv
	v_fma_f64 v[48:49], v[46:47], -0.5, v[38:39]
	v_add_f64 v[46:47], v[72:73], v[76:77]
	v_add_f64 v[38:39], v[38:39], v[70:71]
	v_add_f64 v[70:71], v[99:100], -v[103:104]
	v_fma_f64 v[68:69], v[68:69], -0.5, v[44:45]
	v_add_f64 v[44:45], v[44:45], v[99:100]
	v_fma_f64 v[52:53], v[46:47], -0.5, v[40:41]
	v_fma_f64 v[46:47], v[50:51], s[0:1], v[48:49]
	v_fma_f64 v[50:51], v[50:51], s[4:5], v[48:49]
	v_add_f64 v[40:41], v[40:41], v[72:73]
	v_add_f64 v[72:73], v[78:79], -v[101:102]
	v_add_f64 v[44:45], v[44:45], v[103:104]
	v_add_f64 v[38:39], v[38:39], v[74:75]
	v_fma_f64 v[48:49], v[54:55], s[4:5], v[52:53]
	v_fma_f64 v[52:53], v[54:55], s[0:1], v[52:53]
	v_add_f64 v[54:55], v[78:79], v[101:102]
	v_add_f64 v[40:41], v[40:41], v[76:77]
	v_fma_f64 v[105:106], v[72:73], s[0:1], v[68:69]
	v_fma_f64 v[54:55], v[54:55], -0.5, v[42:43]
	v_add_f64 v[42:43], v[42:43], v[78:79]
	v_fma_f64 v[99:100], v[70:71], s[0:1], v[54:55]
	v_fma_f64 v[103:104], v[70:71], s[4:5], v[54:55]
	v_add_f64 v[54:55], v[107:108], v[120:121]
	v_add_f64 v[42:43], v[42:43], v[101:102]
	v_fma_f64 v[101:102], v[72:73], s[4:5], v[68:69]
	v_add_f64 v[68:69], v[109:110], v[122:123]
	v_add_f64 v[70:71], v[109:110], -v[122:123]
	v_add_f64 v[72:73], v[107:108], -v[120:121]
	v_fma_f64 v[54:55], v[54:55], -0.5, v[30:31]
	v_add_f64 v[30:31], v[30:31], v[107:108]
	v_fma_f64 v[68:69], v[68:69], -0.5, v[32:33]
	v_add_f64 v[32:33], v[32:33], v[109:110]
	v_fma_f64 v[107:108], v[70:71], s[0:1], v[54:55]
	v_add_f64 v[30:31], v[30:31], v[120:121]
	v_fma_f64 v[120:121], v[70:71], s[4:5], v[54:55]
	v_mul_u32_u24_sdwa v54, v98, v8 dst_sel:DWORD dst_unused:UNUSED_PAD src0_sel:WORD_0 src1_sel:DWORD
	v_add_f64 v[32:33], v[32:33], v[122:123]
	v_fma_f64 v[122:123], v[72:73], s[0:1], v[68:69]
	v_fma_f64 v[109:110], v[72:73], s[4:5], v[68:69]
	v_add_lshl_u32 v54, v54, v5, 4
	v_mul_u32_u24_sdwa v5, v97, v8 dst_sel:DWORD dst_unused:UNUSED_PAD src0_sel:WORD_0 src1_sel:DWORD
	v_mul_lo_u16 v8, v145, 57
	ds_write_b128 v54, v[10:13]
	ds_write_b128 v54, v[18:21] offset:96
	v_mad_u16 v11, v64, 18, v65
	v_lshrrev_b16 v8, 10, v8
	v_add_lshl_u32 v13, v5, v6, 4
	v_lshlrev_b32_sdwa v12, v144, v4 dst_sel:DWORD dst_unused:UNUSED_PAD src0_sel:DWORD src1_sel:WORD_0
	v_lshlrev_b32_sdwa v6, v144, v7 dst_sel:DWORD dst_unused:UNUSED_PAD src0_sel:DWORD src1_sel:WORD_0
	;; [unrolled: 1-line block ×3, first 2 shown]
	v_mul_lo_u16 v10, v8, 18
	buffer_store_dword v54, off, s[36:39], 0 offset:476 ; 4-byte Folded Spill
	ds_write_b128 v54, v[22:25] offset:192
	ds_write_b128 v13, v[14:17]
	ds_write_b128 v13, v[26:29] offset:96
	buffer_store_dword v13, off, s[36:39], 0 offset:508 ; 4-byte Folded Spill
	ds_write_b128 v13, v[34:37] offset:192
	ds_write_b128 v12, v[38:41]
	ds_write_b128 v12, v[46:49] offset:96
	v_sub_nc_u16 v10, v162, v10
	buffer_store_dword v12, off, s[36:39], 0 offset:500 ; 4-byte Folded Spill
	ds_write_b128 v12, v[50:53] offset:192
	ds_write_b128 v6, v[42:45]
	ds_write_b128 v6, v[99:102] offset:96
	buffer_store_dword v6, off, s[36:39], 0 offset:492 ; 4-byte Folded Spill
	ds_write_b128 v6, v[103:106] offset:192
	ds_write_b128 v5, v[30:33]
	ds_write_b128 v5, v[107:110] offset:96
	v_and_b32_e32 v10, 0xff, v10
	buffer_store_dword v5, off, s[36:39], 0 offset:480 ; 4-byte Folded Spill
	ds_write_b128 v5, v[120:123] offset:192
	s_waitcnt lgkmcnt(0)
	s_waitcnt_vscnt null, 0x0
	s_barrier
	v_lshlrev_b32_e32 v4, 5, v10
	buffer_gl0_inv
	v_mov_b32_e32 v64, 0xe38f
	s_clause 0x1
	global_load_dwordx4 v[104:107], v4, s[2:3] offset:256
	global_load_dwordx4 v[108:111], v4, s[2:3] offset:272
	v_mul_lo_u16 v4, v9, 18
	v_sub_nc_u16 v4, v196, v4
	v_and_b32_e32 v11, 0xff, v4
	v_lshlrev_b32_e32 v4, 5, v11
	s_clause 0x1
	global_load_dwordx4 v[96:99], v4, s[2:3] offset:256
	global_load_dwordx4 v[100:103], v4, s[2:3] offset:272
	v_mul_u32_u24_sdwa v4, v224, v64 dst_sel:DWORD dst_unused:UNUSED_PAD src0_sel:WORD_0 src1_sel:DWORD
	ds_read_b128 v[14:17], v92 offset:20160
	ds_read_b128 v[22:25], v92 offset:22176
	;; [unrolled: 1-line block ×3, first 2 shown]
	v_lshrrev_b32_e32 v12, 20, v4
	ds_read_b128 v[4:7], v92 offset:10080
	v_mul_lo_u16 v13, v12, 18
	v_sub_nc_u16 v13, v224, v13
	v_lshlrev_b16 v18, 5, v13
	v_and_b32_e32 v18, 0xffff, v18
	v_add_co_u32 v30, s12, s2, v18
	ds_read_b128 v[18:21], v92 offset:8064
	v_add_co_ci_u32_e64 v31, null, s3, 0, s12
	s_clause 0x1
	global_load_dwordx4 v[120:123], v[30:31], off offset:256
	global_load_dwordx4 v[124:127], v[30:31], off offset:272
	s_waitcnt vmcnt(5) lgkmcnt(1)
	v_mul_f64 v[32:33], v[6:7], v[106:107]
	v_mul_f64 v[34:35], v[4:5], v[106:107]
	s_waitcnt vmcnt(4)
	v_mul_f64 v[36:37], v[16:17], v[110:111]
	v_mul_f64 v[38:39], v[14:15], v[110:111]
	v_fma_f64 v[32:33], v[4:5], v[104:105], -v[32:33]
	v_fma_f64 v[34:35], v[6:7], v[104:105], v[34:35]
	ds_read_b128 v[4:7], v92 offset:14112
	v_fma_f64 v[36:37], v[14:15], v[108:109], -v[36:37]
	s_waitcnt vmcnt(3)
	v_mul_f64 v[14:15], v[28:29], v[98:99]
	v_fma_f64 v[38:39], v[16:17], v[108:109], v[38:39]
	v_mul_f64 v[16:17], v[26:27], v[98:99]
	v_fma_f64 v[40:41], v[26:27], v[96:97], -v[14:15]
	s_waitcnt vmcnt(2)
	v_mul_f64 v[14:15], v[24:25], v[102:103]
	v_fma_f64 v[42:43], v[28:29], v[96:97], v[16:17]
	v_mul_f64 v[16:17], v[22:23], v[102:103]
	v_add_f64 v[30:31], v[34:35], -v[38:39]
	v_fma_f64 v[44:45], v[22:23], v[100:101], -v[14:15]
	s_waitcnt vmcnt(1) lgkmcnt(0)
	v_mul_f64 v[14:15], v[6:7], v[122:123]
	v_fma_f64 v[46:47], v[24:25], v[100:101], v[16:17]
	v_fma_f64 v[50:51], v[4:5], v[120:121], -v[14:15]
	v_mul_f64 v[4:5], v[4:5], v[122:123]
	v_fma_f64 v[48:49], v[6:7], v[120:121], v[4:5]
	ds_read_b128 v[4:7], v92 offset:24192
	ds_read_b128 v[14:17], v92 offset:26208
	s_waitcnt vmcnt(0) lgkmcnt(1)
	v_mul_f64 v[22:23], v[6:7], v[126:127]
	v_fma_f64 v[52:53], v[4:5], v[124:125], -v[22:23]
	v_mul_f64 v[4:5], v[4:5], v[126:127]
	v_fma_f64 v[54:55], v[6:7], v[124:125], v[4:5]
	v_mul_u32_u24_sdwa v4, v128, v64 dst_sel:DWORD dst_unused:UNUSED_PAD src0_sel:WORD_0 src1_sel:DWORD
	v_lshrrev_b32_e32 v65, 20, v4
	v_mul_lo_u16 v4, v65, 18
	v_sub_nc_u16 v66, v128, v4
	v_lshlrev_b16 v4, 5, v66
	v_add_f64 v[150:151], v[48:49], -v[54:55]
	v_and_b32_e32 v4, 0xffff, v4
	v_add_co_u32 v4, s12, s2, v4
	v_add_co_ci_u32_e64 v5, null, s3, 0, s12
	s_clause 0x1
	global_load_dwordx4 v[132:135], v[4:5], off offset:256
	global_load_dwordx4 v[128:131], v[4:5], off offset:272
	ds_read_b128 v[4:7], v92 offset:16128
	ds_read_b128 v[22:25], v92 offset:18144
	s_waitcnt vmcnt(1) lgkmcnt(1)
	v_mul_f64 v[26:27], v[6:7], v[134:135]
	v_fma_f64 v[68:69], v[4:5], v[132:133], -v[26:27]
	v_mul_f64 v[4:5], v[4:5], v[134:135]
	v_fma_f64 v[70:71], v[6:7], v[132:133], v[4:5]
	s_waitcnt vmcnt(0)
	v_mul_f64 v[4:5], v[16:17], v[130:131]
	v_fma_f64 v[72:73], v[14:15], v[128:129], -v[4:5]
	v_mul_f64 v[4:5], v[14:15], v[130:131]
	v_fma_f64 v[74:75], v[16:17], v[128:129], v[4:5]
	v_mul_u32_u24_sdwa v4, v136, v64 dst_sel:DWORD dst_unused:UNUSED_PAD src0_sel:WORD_0 src1_sel:DWORD
	v_lshrrev_b32_e32 v64, 20, v4
	v_mul_lo_u16 v4, v64, 18
	v_sub_nc_u16 v67, v136, v4
	v_lshlrev_b16 v4, 5, v67
	v_and_b32_e32 v4, 0xffff, v4
	v_add_co_u32 v4, s12, s2, v4
	v_add_co_ci_u32_e64 v5, null, s3, 0, s12
	s_clause 0x1
	global_load_dwordx4 v[140:143], v[4:5], off offset:256
	global_load_dwordx4 v[136:139], v[4:5], off offset:272
	s_waitcnt vmcnt(1) lgkmcnt(0)
	v_mul_f64 v[4:5], v[24:25], v[142:143]
	v_fma_f64 v[76:77], v[22:23], v[140:141], -v[4:5]
	v_mul_f64 v[4:5], v[22:23], v[142:143]
	v_add_f64 v[22:23], v[32:33], v[36:37]
	v_fma_f64 v[78:79], v[24:25], v[140:141], v[4:5]
	ds_read_b128 v[4:7], v92 offset:28224
	s_waitcnt vmcnt(0) lgkmcnt(0)
	v_mul_f64 v[14:15], v[6:7], v[138:139]
	v_fma_f64 v[158:159], v[4:5], v[136:137], -v[14:15]
	v_mul_f64 v[4:5], v[4:5], v[138:139]
	v_fma_f64 v[160:161], v[6:7], v[136:137], v[4:5]
	ds_read_b128 v[4:7], v92
	ds_read_b128 v[14:17], v92 offset:2016
	s_waitcnt lgkmcnt(1)
	v_fma_f64 v[28:29], v[22:23], -0.5, v[4:5]
	v_add_f64 v[22:23], v[34:35], v[38:39]
	v_add_f64 v[4:5], v[4:5], v[32:33]
	v_fma_f64 v[26:27], v[30:31], s[0:1], v[28:29]
	v_fma_f64 v[146:147], v[22:23], -0.5, v[6:7]
	v_add_f64 v[6:7], v[6:7], v[34:35]
	v_add_f64 v[22:23], v[4:5], v[36:37]
	v_add_f64 v[4:5], v[32:33], -v[36:37]
	v_fma_f64 v[30:31], v[30:31], s[4:5], v[28:29]
	v_add_f64 v[36:37], v[42:43], -v[46:47]
	v_add_f64 v[24:25], v[6:7], v[38:39]
	v_add_f64 v[6:7], v[42:43], v[46:47]
	v_fma_f64 v[28:29], v[4:5], s[4:5], v[146:147]
	v_fma_f64 v[32:33], v[4:5], s[0:1], v[146:147]
	v_add_f64 v[4:5], v[40:41], v[44:45]
	s_waitcnt lgkmcnt(0)
	v_fma_f64 v[6:7], v[6:7], -0.5, v[16:17]
	v_add_f64 v[16:17], v[16:17], v[42:43]
	v_fma_f64 v[4:5], v[4:5], -0.5, v[14:15]
	v_add_f64 v[14:15], v[14:15], v[40:41]
	v_add_f64 v[40:41], v[40:41], -v[44:45]
	v_add_f64 v[16:17], v[16:17], v[46:47]
	v_add_f64 v[46:47], v[50:51], v[52:53]
	v_fma_f64 v[34:35], v[36:37], s[0:1], v[4:5]
	v_add_f64 v[14:15], v[14:15], v[44:45]
	v_fma_f64 v[38:39], v[36:37], s[4:5], v[4:5]
	v_fma_f64 v[36:37], v[40:41], s[4:5], v[6:7]
	;; [unrolled: 1-line block ×3, first 2 shown]
	ds_read_b128 v[4:7], v92 offset:4032
	ds_read_b128 v[42:45], v92 offset:6048
	s_waitcnt lgkmcnt(0)
	s_barrier
	buffer_gl0_inv
	v_fma_f64 v[146:147], v[46:47], -0.5, v[4:5]
	v_add_f64 v[46:47], v[48:49], v[54:55]
	v_add_f64 v[4:5], v[4:5], v[50:51]
	v_fma_f64 v[148:149], v[46:47], -0.5, v[6:7]
	v_add_f64 v[46:47], v[4:5], v[52:53]
	v_add_f64 v[4:5], v[50:51], -v[52:53]
	v_add_f64 v[6:7], v[6:7], v[48:49]
	v_fma_f64 v[50:51], v[150:151], s[0:1], v[146:147]
	v_fma_f64 v[146:147], v[150:151], s[4:5], v[146:147]
	;; [unrolled: 1-line block ×4, first 2 shown]
	v_add_f64 v[4:5], v[68:69], v[72:73]
	v_add_f64 v[48:49], v[6:7], v[54:55]
	v_add_f64 v[54:55], v[70:71], -v[74:75]
	v_add_f64 v[6:7], v[70:71], v[74:75]
	v_fma_f64 v[4:5], v[4:5], -0.5, v[42:43]
	v_add_f64 v[42:43], v[42:43], v[68:69]
	v_add_f64 v[68:69], v[68:69], -v[72:73]
	v_fma_f64 v[6:7], v[6:7], -0.5, v[44:45]
	v_add_f64 v[44:45], v[44:45], v[70:71]
	v_fma_f64 v[150:151], v[54:55], s[0:1], v[4:5]
	v_fma_f64 v[154:155], v[54:55], s[4:5], v[4:5]
	v_add_f64 v[4:5], v[76:77], v[158:159]
	v_add_f64 v[54:55], v[78:79], -v[160:161]
	v_fma_f64 v[152:153], v[68:69], s[4:5], v[6:7]
	v_fma_f64 v[156:157], v[68:69], s[0:1], v[6:7]
	v_add_f64 v[6:7], v[78:79], v[160:161]
	v_add_f64 v[68:69], v[76:77], -v[158:159]
	v_add_f64 v[44:45], v[44:45], v[74:75]
	v_add_f64 v[42:43], v[42:43], v[72:73]
	v_fma_f64 v[4:5], v[4:5], -0.5, v[18:19]
	v_add_f64 v[18:19], v[18:19], v[76:77]
	v_fma_f64 v[6:7], v[6:7], -0.5, v[20:21]
	v_add_f64 v[20:21], v[20:21], v[78:79]
	v_add_f64 v[18:19], v[18:19], v[158:159]
	v_fma_f64 v[158:159], v[54:55], s[0:1], v[4:5]
	v_fma_f64 v[4:5], v[54:55], s[4:5], v[4:5]
	v_mov_b32_e32 v54, 54
	v_add_f64 v[20:21], v[20:21], v[160:161]
	v_fma_f64 v[160:161], v[68:69], s[4:5], v[6:7]
	v_fma_f64 v[6:7], v[68:69], s[0:1], v[6:7]
	v_cmp_gt_u16_e64 s0, 18, v162
	v_mul_u32_u24_sdwa v8, v8, v54 dst_sel:DWORD dst_unused:UNUSED_PAD src0_sel:WORD_0 src1_sel:DWORD
	v_add_lshl_u32 v8, v8, v10, 4
	ds_write_b128 v8, v[22:25]
	ds_write_b128 v8, v[26:29] offset:288
	buffer_store_dword v8, off, s[36:39], 0 offset:512 ; 4-byte Folded Spill
	ds_write_b128 v8, v[30:33] offset:576
	v_mul_u32_u24_sdwa v8, v9, v54 dst_sel:DWORD dst_unused:UNUSED_PAD src0_sel:WORD_0 src1_sel:DWORD
                                        ; implicit-def: $vgpr24_vgpr25
                                        ; implicit-def: $vgpr28_vgpr29
                                        ; implicit-def: $vgpr32_vgpr33
	v_add_lshl_u32 v8, v8, v11, 4
	ds_write_b128 v8, v[14:17]
	ds_write_b128 v8, v[34:37] offset:288
	buffer_store_dword v8, off, s[36:39], 0 offset:516 ; 4-byte Folded Spill
	ds_write_b128 v8, v[38:41] offset:576
	v_mad_u16 v8, v12, 54, v13
                                        ; implicit-def: $vgpr36_vgpr37
	v_lshlrev_b32_sdwa v8, v144, v8 dst_sel:DWORD dst_unused:UNUSED_PAD src0_sel:DWORD src1_sel:WORD_0
	ds_write_b128 v8, v[46:49]
	ds_write_b128 v8, v[50:53] offset:288
	buffer_store_dword v8, off, s[36:39], 0 offset:520 ; 4-byte Folded Spill
	ds_write_b128 v8, v[146:149] offset:576
	v_mad_u16 v8, v65, 54, v66
	v_lshlrev_b32_sdwa v8, v144, v8 dst_sel:DWORD dst_unused:UNUSED_PAD src0_sel:DWORD src1_sel:WORD_0
	ds_write_b128 v8, v[42:45]
	ds_write_b128 v8, v[150:153] offset:288
	buffer_store_dword v8, off, s[36:39], 0 offset:524 ; 4-byte Folded Spill
	ds_write_b128 v8, v[154:157] offset:576
	v_mad_u16 v8, v64, 54, v67
	buffer_store_dword v162, off, s[36:39], 0 ; 4-byte Folded Spill
                                        ; implicit-def: $vgpr44_vgpr45
	v_lshlrev_b32_sdwa v8, v144, v8 dst_sel:DWORD dst_unused:UNUSED_PAD src0_sel:DWORD src1_sel:WORD_0
	ds_write_b128 v8, v[18:21]
	ds_write_b128 v8, v[158:161] offset:288
	buffer_store_dword v8, off, s[36:39], 0 offset:528 ; 4-byte Folded Spill
	ds_write_b128 v8, v[4:7] offset:576
	s_waitcnt lgkmcnt(0)
	s_waitcnt_vscnt null, 0x0
	s_barrier
	buffer_gl0_inv
	ds_read_b128 v[12:15], v92
	ds_read_b128 v[8:11], v92 offset:2016
	ds_read_b128 v[180:183], v92 offset:4320
	ds_read_b128 v[40:43], v92 offset:6336
	ds_read_b128 v[168:171], v92 offset:8640
	ds_read_b128 v[156:159], v92 offset:10656
	ds_read_b128 v[164:167], v92 offset:12960
	ds_read_b128 v[152:155], v92 offset:14976
	ds_read_b128 v[160:163], v92 offset:17280
	ds_read_b128 v[148:151], v92 offset:19296
	ds_read_b128 v[52:55], v92 offset:21600
	ds_read_b128 v[20:23], v92 offset:23616
	ds_read_b128 v[48:51], v92 offset:25920
	ds_read_b128 v[16:19], v92 offset:27936
	s_and_saveexec_b32 s1, s0
	s_cbranch_execz .LBB0_9
; %bb.8:
	ds_read_b128 v[4:7], v92 offset:4032
	ds_read_b128 v[0:3], v92 offset:8352
	;; [unrolled: 1-line block ×7, first 2 shown]
.LBB0_9:
	s_or_b32 exec_lo, exec_lo, s1
	buffer_load_dword v65, off, s[36:39], 0 ; 4-byte Folded Reload
	v_mul_lo_u16 v64, v145, 19
	v_mov_b32_e32 v235, 0x17a
	s_mov_b32 s16, 0xaaaaaaaa
	s_mov_b32 s17, 0xbff2aaaa
	;; [unrolled: 1-line block ×3, first 2 shown]
	v_lshrrev_b16 v197, 10, v64
	s_mov_b32 s14, 0x429ad128
	s_mov_b32 s24, 0x37e14327
	;; [unrolled: 1-line block ×4, first 2 shown]
	v_mul_lo_u16 v64, v197, 54
	s_mov_b32 s25, 0x3fe948f6
	s_mov_b32 s18, 0x5476071b
	;; [unrolled: 1-line block ×13, first 2 shown]
	s_waitcnt vmcnt(0)
	v_sub_nc_u16 v64, v65, v64
	v_and_b32_e32 v198, 0xff, v64
	v_mul_lo_u16 v64, v95, 19
	v_mad_u64_u32 v[184:185], null, 0x60, v198, s[2:3]
	v_lshrrev_b16 v199, 10, v64
	s_clause 0x5
	global_load_dwordx4 v[144:147], v[184:185], off offset:832
	global_load_dwordx4 v[236:239], v[184:185], off offset:848
	;; [unrolled: 1-line block ×6, first 2 shown]
	v_mul_lo_u16 v64, v199, 54
	v_sub_nc_u16 v64, v196, v64
	s_waitcnt vmcnt(5) lgkmcnt(11)
	v_mul_f64 v[68:69], v[182:183], v[146:147]
	s_waitcnt vmcnt(4) lgkmcnt(9)
	v_mul_f64 v[72:73], v[170:171], v[238:239]
	;; [unrolled: 2-line block ×3, first 2 shown]
	v_mul_f64 v[70:71], v[180:181], v[146:147]
	v_mul_f64 v[78:79], v[164:165], v[174:175]
	;; [unrolled: 1-line block ×3, first 2 shown]
	v_fma_f64 v[68:69], v[180:181], v[144:145], -v[68:69]
	s_waitcnt vmcnt(2) lgkmcnt(5)
	v_mul_f64 v[180:181], v[162:163], v[178:179]
	v_fma_f64 v[72:73], v[168:169], v[236:237], -v[72:73]
	v_mul_f64 v[168:169], v[160:161], v[178:179]
	v_fma_f64 v[76:77], v[164:165], v[172:173], -v[76:77]
	s_waitcnt vmcnt(1) lgkmcnt(3)
	v_mul_f64 v[164:165], v[52:53], v[246:247]
	v_fma_f64 v[78:79], v[166:167], v[172:173], v[78:79]
	v_fma_f64 v[74:75], v[170:171], v[236:237], v[74:75]
	v_mul_f64 v[170:171], v[54:55], v[246:247]
	v_fma_f64 v[70:71], v[182:183], v[144:145], v[70:71]
	v_fma_f64 v[166:167], v[160:161], v[176:177], -v[180:181]
	v_and_b32_e32 v160, 0xff, v64
	v_fma_f64 v[161:162], v[162:163], v[176:177], v[168:169]
	s_waitcnt vmcnt(0) lgkmcnt(1)
	v_mul_f64 v[180:181], v[48:49], v[254:255]
	v_fma_f64 v[54:55], v[54:55], v[244:245], v[164:165]
	v_mul_f64 v[168:169], v[50:51], v[254:255]
	v_mad_u64_u32 v[163:164], null, 0x60, v160, s[2:3]
	v_fma_f64 v[52:53], v[52:53], v[244:245], -v[170:171]
	s_clause 0x1
	global_load_dwordx4 v[188:191], v[163:164], off offset:832
	global_load_dwordx4 v[192:195], v[163:164], off offset:848
	v_fma_f64 v[50:51], v[50:51], v[252:253], v[180:181]
	s_clause 0x3
	global_load_dwordx4 v[180:183], v[163:164], off offset:864
	global_load_dwordx4 v[184:187], v[163:164], off offset:880
	;; [unrolled: 1-line block ×4, first 2 shown]
	v_fma_f64 v[48:49], v[48:49], v[252:253], -v[168:169]
	s_waitcnt vmcnt(5)
	v_mul_f64 v[168:169], v[42:43], v[190:191]
	v_fma_f64 v[168:169], v[40:41], v[188:189], -v[168:169]
	v_mul_f64 v[40:41], v[40:41], v[190:191]
	v_fma_f64 v[40:41], v[42:43], v[188:189], v[40:41]
	s_waitcnt vmcnt(4)
	v_mul_f64 v[42:43], v[158:159], v[194:195]
	v_fma_f64 v[42:43], v[156:157], v[192:193], -v[42:43]
	v_mul_f64 v[156:157], v[156:157], v[194:195]
	v_fma_f64 v[156:157], v[158:159], v[192:193], v[156:157]
	;; [unrolled: 5-line block ×4, first 2 shown]
	s_waitcnt vmcnt(1)
	v_mul_f64 v[150:151], v[22:23], v[202:203]
	v_add_f64 v[240:241], v[152:153], v[148:149]
	v_fma_f64 v[150:151], v[20:21], v[200:201], -v[150:151]
	v_mul_f64 v[20:21], v[20:21], v[202:203]
	v_fma_f64 v[163:164], v[22:23], v[200:201], v[20:21]
	s_waitcnt vmcnt(0) lgkmcnt(0)
	v_mul_f64 v[20:21], v[18:19], v[206:207]
	v_add_f64 v[233:234], v[156:157], v[163:164]
	v_fma_f64 v[170:171], v[16:17], v[204:205], -v[20:21]
	v_mul_f64 v[16:17], v[16:17], v[206:207]
	v_fma_f64 v[208:209], v[18:19], v[204:205], v[16:17]
	v_lshrrev_b16 v16, 1, v224
	v_mov_b32_e32 v17, 0x97b5
	v_mul_u32_u24_sdwa v16, v16, v17 dst_sel:DWORD dst_unused:UNUSED_PAD src0_sel:WORD_0 src1_sel:DWORD
	v_lshrrev_b32_e32 v16, 20, v16
	v_mul_lo_u16 v16, v16, 54
	v_sub_nc_u16 v16, v224, v16
	v_add_f64 v[231:232], v[40:41], v[208:209]
	buffer_store_dword v16, off, s[36:39], 0 offset:532 ; 4-byte Folded Spill
	v_mul_lo_u16 v16, 0x60, v16
	v_and_b32_e32 v16, 0xffff, v16
	v_add_co_u32 v16, s1, s2, v16
	v_add_co_ci_u32_e64 v17, null, s3, 0, s1
	s_clause 0x1
	global_load_dwordx4 v[20:23], v[16:17], off offset:832
	global_load_dwordx4 v[64:67], v[16:17], off offset:848
	s_waitcnt vmcnt(1)
	v_mul_f64 v[18:19], v[2:3], v[22:23]
	v_fma_f64 v[210:211], v[0:1], v[20:21], -v[18:19]
	v_mul_f64 v[0:1], v[0:1], v[22:23]
	buffer_store_dword v20, off, s[36:39], 0 offset:536 ; 4-byte Folded Spill
	buffer_store_dword v21, off, s[36:39], 0 offset:540 ; 4-byte Folded Spill
	;; [unrolled: 1-line block ×4, first 2 shown]
	v_fma_f64 v[212:213], v[2:3], v[20:21], v[0:1]
	s_waitcnt vmcnt(0)
	v_mul_f64 v[0:1], v[26:27], v[66:67]
	v_fma_f64 v[214:215], v[24:25], v[64:65], -v[0:1]
	v_mul_f64 v[0:1], v[24:25], v[66:67]
	buffer_store_dword v64, off, s[36:39], 0 offset:552 ; 4-byte Folded Spill
	buffer_store_dword v65, off, s[36:39], 0 offset:556 ; 4-byte Folded Spill
	;; [unrolled: 1-line block ×4, first 2 shown]
	s_clause 0x1
	global_load_dwordx4 v[18:21], v[16:17], off offset:864
	global_load_dwordx4 v[22:25], v[16:17], off offset:880
	v_fma_f64 v[216:217], v[26:27], v[64:65], v[0:1]
	v_add_f64 v[26:27], v[74:75], v[54:55]
	s_waitcnt vmcnt(1)
	v_mul_f64 v[0:1], v[30:31], v[20:21]
	v_fma_f64 v[218:219], v[28:29], v[18:19], -v[0:1]
	v_mul_f64 v[0:1], v[28:29], v[20:21]
	buffer_store_dword v18, off, s[36:39], 0 offset:568 ; 4-byte Folded Spill
	buffer_store_dword v19, off, s[36:39], 0 offset:572 ; 4-byte Folded Spill
	;; [unrolled: 1-line block ×4, first 2 shown]
	v_fma_f64 v[28:29], v[30:31], v[18:19], v[0:1]
	s_waitcnt vmcnt(0)
	v_mul_f64 v[0:1], v[34:35], v[24:25]
	v_fma_f64 v[30:31], v[32:33], v[22:23], -v[0:1]
	v_mul_f64 v[0:1], v[32:33], v[24:25]
	buffer_store_dword v22, off, s[36:39], 0 offset:584 ; 4-byte Folded Spill
	buffer_store_dword v23, off, s[36:39], 0 offset:588 ; 4-byte Folded Spill
	;; [unrolled: 1-line block ×4, first 2 shown]
	v_add_f64 v[32:33], v[78:79], v[161:162]
	v_add_f64 v[80:81], v[218:219], v[30:31]
	v_add_f64 v[30:31], v[30:31], -v[218:219]
	v_fma_f64 v[220:221], v[34:35], v[22:23], v[0:1]
	s_clause 0x1
	global_load_dwordx4 v[18:21], v[16:17], off offset:896
	global_load_dwordx4 v[22:25], v[16:17], off offset:912
	v_add_f64 v[16:17], v[68:69], v[48:49]
	v_add_f64 v[48:49], v[68:69], -v[48:49]
	v_add_f64 v[88:89], v[28:29], v[220:221]
	v_add_f64 v[28:29], v[220:221], -v[28:29]
	s_waitcnt vmcnt(1)
	v_mul_f64 v[0:1], v[38:39], v[20:21]
	v_fma_f64 v[222:223], v[36:37], v[18:19], -v[0:1]
	v_mul_f64 v[0:1], v[36:37], v[20:21]
	buffer_store_dword v18, off, s[36:39], 0 offset:600 ; 4-byte Folded Spill
	buffer_store_dword v19, off, s[36:39], 0 offset:604 ; 4-byte Folded Spill
	;; [unrolled: 1-line block ×4, first 2 shown]
	v_add_f64 v[20:21], v[76:77], v[166:167]
	v_add_f64 v[36:37], v[42:43], v[150:151]
	v_add_f64 v[42:43], v[42:43], -v[150:151]
	v_add_f64 v[250:251], v[214:215], v[222:223]
	v_fma_f64 v[225:226], v[38:39], v[18:19], v[0:1]
	s_waitcnt vmcnt(0)
	v_mul_f64 v[0:1], v[46:47], v[24:25]
	v_add_f64 v[18:19], v[72:73], v[52:53]
	v_add_f64 v[86:87], v[216:217], v[225:226]
	v_fma_f64 v[227:228], v[44:45], v[22:23], -v[0:1]
	v_mul_f64 v[0:1], v[44:45], v[24:25]
	buffer_store_dword v22, off, s[36:39], 0 offset:616 ; 4-byte Folded Spill
	buffer_store_dword v23, off, s[36:39], 0 offset:620 ; 4-byte Folded Spill
	;; [unrolled: 1-line block ×4, first 2 shown]
	v_add_f64 v[24:25], v[70:71], v[50:51]
	v_add_f64 v[44:45], v[168:169], v[170:171]
	v_add_f64 v[50:51], v[70:71], -v[50:51]
	s_waitcnt_vscnt null, 0x0
	s_barrier
	buffer_gl0_inv
	v_add_f64 v[68:69], v[20:21], -v[18:19]
	v_add_f64 v[248:249], v[210:211], v[227:228]
	v_add_f64 v[66:67], v[36:37], -v[44:45]
	v_fma_f64 v[229:230], v[46:47], v[22:23], v[0:1]
	v_add_f64 v[0:1], v[18:19], v[16:17]
	v_add_f64 v[46:47], v[158:159], v[154:155]
	;; [unrolled: 1-line block ×8, first 2 shown]
	v_add_f64 v[44:45], v[44:45], -v[46:47]
	v_add_f64 v[14:15], v[14:15], v[34:35]
	v_add_f64 v[38:39], v[46:47], v[0:1]
	;; [unrolled: 1-line block ×3, first 2 shown]
	v_fma_f64 v[34:35], v[34:35], s[16:17], v[14:15]
	v_add_f64 v[8:9], v[8:9], v[38:39]
	v_add_f64 v[242:243], v[240:241], v[0:1]
	;; [unrolled: 1-line block ×8, first 2 shown]
	v_mul_u32_u24_sdwa v4, v197, v235 dst_sel:DWORD dst_unused:UNUSED_PAD src0_sel:WORD_0 src1_sel:DWORD
	v_add_lshl_u32 v95, v4, v198, 4
	v_fma_f64 v[197:198], v[22:23], s[16:17], v[12:13]
	v_add_f64 v[4:5], v[72:73], -v[52:53]
	v_add_f64 v[22:23], v[166:167], -v[76:77]
	;; [unrolled: 1-line block ×3, first 2 shown]
	ds_write_b128 v95, v[12:15]
	v_add_f64 v[2:3], v[6:7], v[90:91]
	v_add_f64 v[6:7], v[74:75], -v[54:55]
	v_add_f64 v[54:55], v[18:19], -v[16:17]
	;; [unrolled: 1-line block ×6, first 2 shown]
	v_fma_f64 v[82:83], v[82:83], s[16:17], v[0:1]
	v_add_f64 v[70:71], v[4:5], -v[48:49]
	v_add_f64 v[12:13], v[22:23], v[4:5]
	v_add_f64 v[14:15], v[22:23], -v[4:5]
	v_add_f64 v[24:25], v[48:49], -v[22:23]
	;; [unrolled: 1-line block ×3, first 2 shown]
	v_fma_f64 v[90:91], v[90:91], s[16:17], v[2:3]
	v_add_f64 v[4:5], v[52:53], v[6:7]
	v_add_f64 v[74:75], v[6:7], -v[50:51]
	v_add_f64 v[72:73], v[52:53], -v[6:7]
	v_mul_f64 v[6:7], v[26:27], s[4:5]
	v_mul_f64 v[52:53], v[20:21], s[24:25]
	;; [unrolled: 1-line block ×3, first 2 shown]
	v_add_f64 v[76:77], v[12:13], v[48:49]
	v_mul_f64 v[161:162], v[14:15], s[20:21]
	v_add_f64 v[78:79], v[4:5], v[50:51]
	v_mul_f64 v[48:49], v[74:75], s[14:15]
	v_mul_f64 v[50:51], v[16:17], s[24:25]
	;; [unrolled: 1-line block ×3, first 2 shown]
	v_fma_f64 v[6:7], v[18:19], s[18:19], -v[6:7]
	v_fma_f64 v[18:19], v[18:19], s[26:27], -v[52:53]
	v_mul_f64 v[72:73], v[72:73], s[20:21]
	v_fma_f64 v[26:27], v[26:27], s[4:5], v[52:53]
	v_fma_f64 v[16:17], v[24:25], s[28:29], -v[22:23]
	v_add_f64 v[52:53], v[156:157], -v[163:164]
	v_fma_f64 v[12:13], v[70:71], s[14:15], -v[161:162]
	v_fma_f64 v[24:25], v[24:25], s[22:23], v[161:162]
	v_add_f64 v[70:71], v[233:234], -v[231:232]
	v_fma_f64 v[20:21], v[32:33], s[28:29], -v[48:49]
	v_fma_f64 v[22:23], v[54:55], s[26:27], -v[50:51]
	;; [unrolled: 1-line block ×3, first 2 shown]
	v_add_f64 v[64:65], v[6:7], v[34:35]
	v_add_f64 v[54:55], v[18:19], v[34:35]
	v_fma_f64 v[32:33], v[32:33], s[22:23], v[72:73]
	v_add_f64 v[34:35], v[26:27], v[34:35]
	v_fma_f64 v[48:49], v[76:77], s[12:13], v[16:17]
	v_fma_f64 v[14:15], v[76:77], s[12:13], v[12:13]
	v_fma_f64 v[12:13], v[74:75], s[14:15], -v[72:73]
	v_add_f64 v[72:73], v[240:241], -v[233:234]
	v_fma_f64 v[20:21], v[78:79], s[12:13], v[20:21]
	v_add_f64 v[22:23], v[22:23], v[197:198]
	v_add_f64 v[165:166], v[4:5], v[197:198]
	v_fma_f64 v[32:33], v[78:79], s[12:13], v[32:33]
	v_add_f64 v[18:19], v[54:55], -v[48:49]
	v_add_f64 v[6:7], v[14:15], v[64:65]
	v_add_f64 v[14:15], v[64:65], -v[14:15]
	v_add_f64 v[64:65], v[40:41], -v[208:209]
	v_fma_f64 v[12:13], v[78:79], s[12:13], v[12:13]
	v_add_f64 v[16:17], v[20:21], v[22:23]
	v_add_f64 v[20:21], v[22:23], -v[20:21]
	v_add_f64 v[22:23], v[48:49], v[54:55]
	v_fma_f64 v[48:49], v[68:69], s[4:5], v[50:51]
	v_fma_f64 v[50:51], v[76:77], s[12:13], v[24:25]
	v_add_f64 v[54:55], v[148:149], -v[152:153]
	v_add_f64 v[68:69], v[46:47], -v[36:37]
	v_fma_f64 v[152:153], v[38:39], s[16:17], v[8:9]
	v_add_f64 v[46:47], v[231:232], -v[240:241]
	v_add_f64 v[4:5], v[165:166], -v[12:13]
	v_add_f64 v[12:13], v[12:13], v[165:166]
	v_add_f64 v[48:49], v[48:49], v[197:198]
	v_add_f64 v[26:27], v[34:35], -v[50:51]
	v_add_f64 v[34:35], v[50:51], v[34:35]
	v_add_f64 v[50:51], v[168:169], -v[170:171]
	v_add_f64 v[76:77], v[54:55], -v[52:53]
	v_add_f64 v[24:25], v[32:33], v[48:49]
	v_add_f64 v[32:33], v[48:49], -v[32:33]
	v_add_f64 v[48:49], v[154:155], -v[158:159]
	;; [unrolled: 1-line block ×3, first 2 shown]
	v_mul_f64 v[76:77], v[76:77], s[20:21]
	v_fma_f64 v[154:155], v[242:243], s[16:17], v[10:11]
	v_add_f64 v[40:41], v[48:49], -v[42:43]
	v_add_f64 v[36:37], v[48:49], v[42:43]
	v_add_f64 v[42:43], v[54:55], v[52:53]
	v_add_f64 v[52:53], v[52:53], -v[64:65]
	v_add_f64 v[54:55], v[64:65], -v[54:55]
	v_mul_f64 v[150:151], v[40:41], s[20:21]
	v_add_f64 v[78:79], v[36:37], v[50:51]
	v_mul_f64 v[36:37], v[68:69], s[4:5]
	v_add_f64 v[148:149], v[42:43], v[64:65]
	v_mul_f64 v[40:41], v[72:73], s[4:5]
	v_mul_f64 v[64:65], v[46:47], s[24:25]
	v_fma_f64 v[38:39], v[74:75], s[14:15], -v[150:151]
	v_fma_f64 v[36:37], v[66:67], s[18:19], -v[36:37]
	;; [unrolled: 1-line block ×3, first 2 shown]
	v_fma_f64 v[42:43], v[78:79], s[12:13], v[38:39]
	v_fma_f64 v[38:39], v[52:53], s[14:15], -v[76:77]
	v_add_f64 v[158:159], v[36:37], v[152:153]
	v_add_f64 v[161:162], v[40:41], v[154:155]
	v_fma_f64 v[156:157], v[148:149], s[12:13], v[38:39]
	v_add_f64 v[38:39], v[42:43], v[161:162]
	v_add_f64 v[42:43], v[161:162], -v[42:43]
	v_add_f64 v[36:37], v[158:159], -v[156:157]
	v_add_f64 v[40:41], v[156:157], v[158:159]
	v_add_f64 v[156:157], v[50:51], -v[48:49]
	v_mul_f64 v[48:49], v[74:75], s[14:15]
	v_mul_f64 v[50:51], v[52:53], s[14:15]
	;; [unrolled: 1-line block ×3, first 2 shown]
	v_add_f64 v[74:75], v[80:81], -v[250:251]
	v_add_f64 v[80:81], v[248:249], -v[80:81]
	v_fma_f64 v[44:45], v[156:157], s[28:29], -v[48:49]
	v_fma_f64 v[46:47], v[54:55], s[28:29], -v[50:51]
	;; [unrolled: 1-line block ×4, first 2 shown]
	v_fma_f64 v[54:55], v[54:55], s[22:23], v[76:77]
	v_fma_f64 v[52:53], v[68:69], s[4:5], v[52:53]
	;; [unrolled: 1-line block ×3, first 2 shown]
	v_add_f64 v[72:73], v[250:251], -v[248:249]
	v_add_f64 v[76:77], v[86:87], -v[84:85]
	v_mul_f64 v[158:159], v[74:75], s[4:5]
	v_add_f64 v[84:85], v[84:85], -v[88:89]
	v_fma_f64 v[66:67], v[78:79], s[12:13], v[44:45]
	v_fma_f64 v[70:71], v[148:149], s[12:13], v[46:47]
	v_add_f64 v[50:51], v[50:51], v[154:155]
	v_add_f64 v[48:49], v[48:49], v[152:153]
	v_fma_f64 v[68:69], v[148:149], s[12:13], v[54:55]
	v_add_f64 v[64:65], v[64:65], v[154:155]
	v_fma_f64 v[158:159], v[72:73], s[18:19], -v[158:159]
	v_add_f64 v[46:47], v[50:51], -v[66:67]
	v_add_f64 v[50:51], v[66:67], v[50:51]
	v_fma_f64 v[66:67], v[156:157], s[22:23], v[150:151]
	v_add_f64 v[44:45], v[70:71], v[48:49]
	v_add_f64 v[48:49], v[48:49], -v[70:71]
	v_add_f64 v[70:71], v[52:53], v[152:153]
	v_add_f64 v[158:159], v[158:159], v[82:83]
	v_fma_f64 v[66:67], v[78:79], s[12:13], v[66:67]
	v_add_f64 v[78:79], v[88:89], -v[86:87]
	v_add_f64 v[52:53], v[68:69], v[70:71]
	v_add_f64 v[148:149], v[70:71], -v[68:69]
	v_add_f64 v[68:69], v[216:217], -v[225:226]
	;; [unrolled: 1-line block ×4, first 2 shown]
	v_add_f64 v[150:151], v[66:67], v[64:65]
	v_add_f64 v[64:65], v[214:215], -v[222:223]
	v_add_f64 v[66:67], v[210:211], -v[227:228]
	v_mul_f64 v[161:162], v[78:79], s[4:5]
	v_add_f64 v[156:157], v[28:29], -v[68:69]
	v_add_f64 v[154:155], v[28:29], v[68:69]
	v_add_f64 v[68:69], v[68:69], -v[70:71]
	v_add_f64 v[28:29], v[70:71], -v[28:29]
	v_add_f64 v[152:153], v[30:31], -v[64:65]
	v_add_f64 v[86:87], v[30:31], v[64:65]
	v_add_f64 v[64:65], v[64:65], -v[66:67]
	v_mul_f64 v[156:157], v[156:157], s[20:21]
	v_add_f64 v[154:155], v[154:155], v[70:71]
	v_fma_f64 v[161:162], v[76:77], s[18:19], -v[161:162]
	v_add_f64 v[30:31], v[66:67], -v[30:31]
	v_mul_f64 v[70:71], v[84:85], s[24:25]
	v_mul_f64 v[152:153], v[152:153], s[20:21]
	v_add_f64 v[86:87], v[86:87], v[66:67]
	v_mul_f64 v[66:67], v[68:69], s[14:15]
	v_fma_f64 v[165:166], v[68:69], s[14:15], -v[156:157]
	v_mul_f64 v[68:69], v[80:81], s[24:25]
	v_add_f64 v[161:162], v[161:162], v[90:91]
	v_fma_f64 v[76:77], v[76:77], s[26:27], -v[70:71]
	v_fma_f64 v[163:164], v[64:65], s[14:15], -v[152:153]
	v_mul_f64 v[64:65], v[64:65], s[14:15]
	v_fma_f64 v[66:67], v[28:29], s[28:29], -v[66:67]
	v_fma_f64 v[165:166], v[154:155], s[12:13], v[165:166]
	v_fma_f64 v[72:73], v[72:73], s[26:27], -v[68:69]
	v_fma_f64 v[28:29], v[28:29], s[22:23], v[156:157]
	v_add_f64 v[76:77], v[76:77], v[90:91]
	v_fma_f64 v[163:164], v[86:87], s[12:13], v[163:164]
	v_fma_f64 v[64:65], v[30:31], s[28:29], -v[64:65]
	v_fma_f64 v[66:67], v[154:155], s[12:13], v[66:67]
	v_add_f64 v[167:168], v[158:159], -v[165:166]
	v_add_f64 v[72:73], v[72:73], v[82:83]
	v_add_f64 v[165:166], v[165:166], v[158:159]
	v_fma_f64 v[30:31], v[30:31], s[22:23], v[152:153]
	v_add_f64 v[169:170], v[163:164], v[161:162]
	v_fma_f64 v[64:65], v[86:87], s[12:13], v[64:65]
	buffer_store_dword v167, off, s[36:39], 0 offset:4 ; 4-byte Folded Spill
	buffer_store_dword v168, off, s[36:39], 0 offset:8 ; 4-byte Folded Spill
	;; [unrolled: 1-line block ×4, first 2 shown]
	v_add_f64 v[167:168], v[161:162], -v[163:164]
	v_add_f64 v[161:162], v[66:67], v[72:73]
	v_add_f64 v[163:164], v[76:77], -v[64:65]
	buffer_store_dword v165, off, s[36:39], 0 offset:20 ; 4-byte Folded Spill
	buffer_store_dword v166, off, s[36:39], 0 offset:24 ; 4-byte Folded Spill
	;; [unrolled: 1-line block ×8, first 2 shown]
	v_add_f64 v[161:162], v[72:73], -v[66:67]
	v_add_f64 v[163:164], v[64:65], v[76:77]
	v_fma_f64 v[64:65], v[74:75], s[4:5], v[68:69]
	v_fma_f64 v[66:67], v[78:79], s[4:5], v[70:71]
	;; [unrolled: 1-line block ×4, first 2 shown]
	buffer_store_dword v161, off, s[36:39], 0 offset:52 ; 4-byte Folded Spill
	buffer_store_dword v162, off, s[36:39], 0 offset:56 ; 4-byte Folded Spill
	;; [unrolled: 1-line block ×4, first 2 shown]
	v_add_f64 v[64:65], v[64:65], v[82:83]
	v_add_f64 v[66:67], v[66:67], v[90:91]
	;; [unrolled: 1-line block ×3, first 2 shown]
	v_add_f64 v[30:31], v[66:67], -v[68:69]
	v_add_f64 v[64:65], v[64:65], -v[70:71]
	v_add_f64 v[66:67], v[68:69], v[66:67]
	buffer_store_dword v64, off, s[36:39], 0 offset:68 ; 4-byte Folded Spill
	buffer_store_dword v65, off, s[36:39], 0 offset:72 ; 4-byte Folded Spill
	;; [unrolled: 1-line block ×4, first 2 shown]
	ds_write_b128 v95, v[24:27] offset:864
	ds_write_b128 v95, v[16:19] offset:1728
	ds_write_b128 v95, v[4:7] offset:2592
	ds_write_b128 v95, v[12:15] offset:3456
	ds_write_b128 v95, v[20:23] offset:4320
	ds_write_b128 v95, v[32:35] offset:5184
	v_mul_u32_u24_sdwa v4, v199, v235 dst_sel:DWORD dst_unused:UNUSED_PAD src0_sel:WORD_0 src1_sel:DWORD
	v_add_lshl_u32 v164, v4, v160, 4
	ds_write_b128 v164, v[8:11]
	ds_write_b128 v164, v[52:55] offset:864
	ds_write_b128 v164, v[44:47] offset:1728
	ds_write_b128 v164, v[36:39] offset:2592
	ds_write_b128 v164, v[40:43] offset:3456
	ds_write_b128 v164, v[48:51] offset:4320
	ds_write_b128 v164, v[148:151] offset:5184
	s_and_saveexec_b32 s1, s0
	s_cbranch_execz .LBB0_11
; %bb.10:
	buffer_load_dword v5, off, s[36:39], 0 offset:532 ; 4-byte Folded Reload
	v_mov_b32_e32 v4, 4
	s_waitcnt vmcnt(0)
	v_lshlrev_b32_sdwa v4, v4, v5 dst_sel:DWORD dst_unused:UNUSED_PAD src0_sel:DWORD src1_sel:WORD_0
	ds_write_b128 v4, v[0:3] offset:24192
	ds_write_b128 v4, v[28:31] offset:25056
	s_clause 0x3
	buffer_load_dword v0, off, s[36:39], 0 offset:36
	buffer_load_dword v1, off, s[36:39], 0 offset:40
	buffer_load_dword v2, off, s[36:39], 0 offset:44
	buffer_load_dword v3, off, s[36:39], 0 offset:48
	s_waitcnt vmcnt(0)
	ds_write_b128 v4, v[0:3] offset:25920
	s_clause 0x3
	buffer_load_dword v0, off, s[36:39], 0 offset:4
	buffer_load_dword v1, off, s[36:39], 0 offset:8
	buffer_load_dword v2, off, s[36:39], 0 offset:12
	buffer_load_dword v3, off, s[36:39], 0 offset:16
	s_waitcnt vmcnt(0)
	;; [unrolled: 7-line block ×5, first 2 shown]
	ds_write_b128 v4, v[0:3] offset:29376
.LBB0_11:
	s_or_b32 exec_lo, exec_lo, s1
	buffer_load_dword v169, off, s[36:39], 0 ; 4-byte Folded Reload
	v_lshlrev_b32_e32 v4, 6, v196
	s_waitcnt vmcnt(0) lgkmcnt(0)
	s_waitcnt_vscnt null, 0x0
	s_barrier
	buffer_gl0_inv
	s_mov_b32 s4, 0x134454ff
	s_mov_b32 s5, 0x3fee6f0e
	s_mov_b32 s17, 0xbfee6f0e
	s_mov_b32 s16, s4
	s_mov_b32 s13, 0xbfe2cf23
	s_mov_b32 s14, 0x372fe950
	s_mov_b32 s15, 0x3fd3c6ef
	v_lshlrev_b32_e32 v0, 6, v169
	v_add_co_u32 v2, s1, s2, v0
	v_add_co_ci_u32_e64 v3, null, s3, 0, s1
	v_add_co_u32 v0, s1, 0x1000, v2
	v_add_co_ci_u32_e64 v1, s1, 0, v3, s1
	v_add_co_u32 v2, s1, 0x1780, v2
	v_add_co_ci_u32_e64 v3, s1, 0, v3, s1
	v_add_co_u32 v4, s1, s2, v4
	v_add_co_ci_u32_e64 v5, null, s3, 0, s1
	global_load_dwordx4 v[196:199], v[0:1], off offset:1920
	v_add_co_u32 v0, s1, 0x1000, v4
	v_add_co_ci_u32_e64 v1, s1, 0, v5, s1
	s_clause 0x3
	global_load_dwordx4 v[212:215], v[2:3], off offset:16
	global_load_dwordx4 v[216:219], v[2:3], off offset:32
	;; [unrolled: 1-line block ×4, first 2 shown]
	v_add_co_u32 v2, s1, 0x1780, v4
	v_add_co_ci_u32_e64 v3, s1, 0, v5, s1
	v_lshlrev_b32_e32 v0, 6, v224
	s_clause 0x2
	global_load_dwordx4 v[232:235], v[2:3], off offset:16
	global_load_dwordx4 v[224:227], v[2:3], off offset:32
	;; [unrolled: 1-line block ×3, first 2 shown]
	v_add_co_u32 v4, s1, s2, v0
	v_add_co_ci_u32_e64 v5, null, s3, 0, s1
	s_mov_b32 s2, 0x4755a5e
	v_add_co_u32 v0, s1, 0x1000, v4
	v_add_co_ci_u32_e64 v1, s1, 0, v5, s1
	v_add_co_u32 v8, s1, 0x1780, v4
	v_add_co_ci_u32_e64 v9, s1, 0, v5, s1
	s_clause 0x3
	global_load_dwordx4 v[248:251], v[0:1], off offset:1920
	global_load_dwordx4 v[4:7], v[8:9], off offset:16
	;; [unrolled: 1-line block ×4, first 2 shown]
	ds_read_b128 v[52:55], v92 offset:6048
	ds_read_b128 v[44:47], v92 offset:12096
	;; [unrolled: 1-line block ×12, first 2 shown]
	s_mov_b32 s3, 0x3fe2cf23
	s_mov_b32 s12, s2
	v_add_co_u32 v170, s1, 0x7000, v93
	v_add_co_ci_u32_e64 v171, s1, 0, v94, s1
	s_waitcnt vmcnt(11) lgkmcnt(11)
	v_mul_f64 v[64:65], v[54:55], v[198:199]
	v_mul_f64 v[66:67], v[52:53], v[198:199]
	s_waitcnt vmcnt(10) lgkmcnt(10)
	v_mul_f64 v[70:71], v[44:45], v[214:215]
	s_waitcnt vmcnt(9) lgkmcnt(9)
	v_mul_f64 v[72:73], v[50:51], v[218:219]
	v_mul_f64 v[74:75], v[48:49], v[218:219]
	s_waitcnt vmcnt(8) lgkmcnt(8)
	v_mul_f64 v[76:77], v[40:41], v[210:211]
	;; [unrolled: 3-line block ×3, first 2 shown]
	v_mul_f64 v[82:83], v[36:37], v[222:223]
	v_mul_f64 v[68:69], v[46:47], v[214:215]
	s_waitcnt vmcnt(6) lgkmcnt(6)
	v_mul_f64 v[84:85], v[34:35], v[234:235]
	v_mul_f64 v[86:87], v[32:33], v[234:235]
	s_waitcnt vmcnt(4) lgkmcnt(3)
	v_mul_f64 v[88:89], v[16:17], v[242:243]
	v_fma_f64 v[52:53], v[52:53], v[196:197], -v[64:65]
	v_fma_f64 v[54:55], v[54:55], v[196:197], v[66:67]
	v_mul_f64 v[64:65], v[14:15], v[226:227]
	v_mul_f64 v[66:67], v[12:13], v[226:227]
	v_fma_f64 v[46:47], v[46:47], v[212:213], v[70:71]
	v_mul_f64 v[70:71], v[18:19], v[242:243]
	v_fma_f64 v[48:49], v[48:49], v[216:217], -v[72:73]
	v_fma_f64 v[50:51], v[50:51], v[216:217], v[74:75]
	v_fma_f64 v[72:73], v[42:43], v[208:209], v[76:77]
	v_fma_f64 v[40:41], v[40:41], v[208:209], -v[78:79]
	s_waitcnt vmcnt(3) lgkmcnt(1)
	v_mul_f64 v[74:75], v[26:27], v[250:251]
	v_mul_f64 v[76:77], v[24:25], v[250:251]
	v_fma_f64 v[78:79], v[36:37], v[220:221], -v[80:81]
	v_fma_f64 v[80:81], v[38:39], v[220:221], v[82:83]
	s_waitcnt vmcnt(2)
	v_mul_f64 v[36:37], v[22:23], v[6:7]
	v_mul_f64 v[38:39], v[20:21], v[6:7]
	v_fma_f64 v[68:69], v[44:45], v[212:213], -v[68:69]
	ds_read_b128 v[42:45], v92
	v_fma_f64 v[82:83], v[32:33], v[232:233], -v[84:85]
	v_fma_f64 v[84:85], v[34:35], v[232:233], v[86:87]
	ds_read_b128 v[32:35], v92 offset:28224
	v_fma_f64 v[86:87], v[18:19], v[240:241], v[88:89]
	v_fma_f64 v[64:65], v[12:13], v[224:225], -v[64:65]
	v_fma_f64 v[66:67], v[14:15], v[224:225], v[66:67]
	ds_read_b128 v[12:15], v92 offset:2016
	v_fma_f64 v[70:71], v[16:17], v[240:241], -v[70:71]
	v_add_f64 v[152:153], v[40:41], -v[48:49]
	v_fma_f64 v[74:75], v[24:25], v[248:249], -v[74:75]
	v_fma_f64 v[76:77], v[26:27], v[248:249], v[76:77]
	s_waitcnt vmcnt(1) lgkmcnt(3)
	v_mul_f64 v[24:25], v[150:151], v[2:3]
	v_mul_f64 v[26:27], v[148:149], v[2:3]
	v_fma_f64 v[88:89], v[20:21], v[4:5], -v[36:37]
	s_waitcnt lgkmcnt(2)
	v_add_f64 v[16:17], v[44:45], v[54:55]
	v_add_f64 v[18:19], v[42:43], v[52:53]
	v_fma_f64 v[90:91], v[22:23], v[4:5], v[38:39]
	s_waitcnt vmcnt(0) lgkmcnt(1)
	v_mul_f64 v[20:21], v[34:35], v[230:231]
	v_mul_f64 v[22:23], v[32:33], v[230:231]
	v_add_f64 v[38:39], v[54:55], -v[46:47]
	v_add_f64 v[156:157], v[82:83], -v[64:65]
	v_add_f64 v[160:161], v[8:9], v[74:75]
	v_add_f64 v[162:163], v[10:11], v[76:77]
	v_fma_f64 v[148:149], v[148:149], v[0:1], -v[24:25]
	v_fma_f64 v[150:151], v[150:151], v[0:1], v[26:27]
	v_add_f64 v[24:25], v[46:47], v[50:51]
	v_add_f64 v[16:17], v[16:17], v[46:47]
	;; [unrolled: 1-line block ×4, first 2 shown]
	v_fma_f64 v[32:33], v[32:33], v[228:229], -v[20:21]
	v_fma_f64 v[34:35], v[34:35], v[228:229], v[22:23]
	v_add_f64 v[20:21], v[68:69], v[48:49]
	v_add_f64 v[22:23], v[52:53], v[40:41]
	;; [unrolled: 1-line block ×3, first 2 shown]
	v_fma_f64 v[24:25], v[24:25], -0.5, v[44:45]
	v_add_f64 v[16:17], v[16:17], v[50:51]
	v_add_f64 v[36:37], v[18:19], v[48:49]
	v_fma_f64 v[26:27], v[26:27], -0.5, v[44:45]
	v_add_f64 v[44:45], v[46:47], -v[50:51]
	v_add_f64 v[165:166], v[148:149], -v[32:33]
	v_fma_f64 v[20:21], v[20:21], -0.5, v[42:43]
	v_fma_f64 v[22:23], v[22:23], -0.5, v[42:43]
	v_add_f64 v[42:43], v[46:47], -v[54:55]
	v_add_f64 v[46:47], v[72:73], -v[50:51]
	;; [unrolled: 1-line block ×4, first 2 shown]
	v_fma_f64 v[158:159], v[158:159], -0.5, v[10:11]
	v_add_f64 v[18:19], v[16:17], v[72:73]
	v_add_f64 v[16:17], v[36:37], v[40:41]
	v_add_f64 v[36:37], v[52:53], -v[68:69]
	v_add_f64 v[72:73], v[68:69], -v[52:53]
	;; [unrolled: 1-line block ×5, first 2 shown]
	v_fma_f64 v[52:53], v[44:45], s[16:17], v[22:23]
	v_add_f64 v[38:39], v[38:39], v[46:47]
	v_fma_f64 v[46:47], v[54:55], s[4:5], v[20:21]
	v_fma_f64 v[20:21], v[54:55], s[16:17], v[20:21]
	;; [unrolled: 1-line block ×3, first 2 shown]
	v_add_f64 v[42:43], v[42:43], v[50:51]
	v_add_f64 v[36:37], v[36:37], v[152:153]
	v_fma_f64 v[152:153], v[68:69], s[4:5], v[26:27]
	v_fma_f64 v[26:27], v[68:69], s[16:17], v[26:27]
	v_add_f64 v[48:49], v[72:73], v[48:49]
	v_fma_f64 v[50:51], v[54:55], s[2:3], v[52:53]
	v_add_f64 v[72:73], v[78:79], -v[82:83]
	v_fma_f64 v[46:47], v[44:45], s[2:3], v[46:47]
	v_fma_f64 v[44:45], v[44:45], s[12:13], v[20:21]
	;; [unrolled: 1-line block ×10, first 2 shown]
	v_add_f64 v[46:47], v[70:71], -v[64:65]
	v_fma_f64 v[24:25], v[36:37], s[14:15], v[44:45]
	v_add_f64 v[44:45], v[82:83], v[64:65]
	v_fma_f64 v[36:37], v[48:49], s[14:15], v[50:51]
	v_add_f64 v[50:51], v[84:85], v[66:67]
	v_fma_f64 v[40:41], v[48:49], s[14:15], v[52:53]
	v_add_f64 v[48:49], v[80:81], -v[84:85]
	v_add_f64 v[52:53], v[86:87], -v[66:67]
	v_fma_f64 v[22:23], v[38:39], s[14:15], v[154:155]
	v_fma_f64 v[26:27], v[38:39], s[14:15], v[68:69]
	;; [unrolled: 1-line block ×3, first 2 shown]
	v_add_f64 v[54:55], v[72:73], v[46:47]
	v_add_f64 v[68:69], v[80:81], -v[86:87]
	s_waitcnt lgkmcnt(0)
	v_fma_f64 v[72:73], v[44:45], -0.5, v[12:13]
	v_add_f64 v[154:155], v[78:79], -v[70:71]
	v_fma_f64 v[42:43], v[42:43], s[14:15], v[152:153]
	v_add_f64 v[152:153], v[84:85], -v[66:67]
	v_add_f64 v[52:53], v[48:49], v[52:53]
	v_fma_f64 v[48:49], v[50:51], -0.5, v[14:15]
	v_fma_f64 v[44:45], v[68:69], s[4:5], v[72:73]
	v_fma_f64 v[50:51], v[68:69], s[16:17], v[72:73]
	;; [unrolled: 1-line block ×10, first 2 shown]
	v_add_f64 v[54:55], v[80:81], v[86:87]
	v_fma_f64 v[46:47], v[52:53], s[14:15], v[46:47]
	v_fma_f64 v[50:51], v[52:53], s[14:15], v[72:73]
	v_add_f64 v[52:53], v[78:79], v[70:71]
	v_add_f64 v[72:73], v[84:85], -v[80:81]
	v_fma_f64 v[54:55], v[54:55], -0.5, v[14:15]
	v_add_f64 v[14:15], v[14:15], v[80:81]
	v_add_f64 v[80:81], v[74:75], v[32:33]
	v_fma_f64 v[52:53], v[52:53], -0.5, v[12:13]
	v_add_f64 v[12:13], v[12:13], v[78:79]
	v_add_f64 v[78:79], v[82:83], -v[78:79]
	v_add_f64 v[14:15], v[14:15], v[84:85]
	v_add_f64 v[84:85], v[88:89], v[148:149]
	v_fma_f64 v[80:81], v[80:81], -0.5, v[8:9]
	v_add_f64 v[12:13], v[12:13], v[82:83]
	v_add_f64 v[82:83], v[76:77], v[34:35]
	v_fma_f64 v[84:85], v[84:85], -0.5, v[8:9]
	v_add_f64 v[8:9], v[14:15], v[66:67]
	v_add_f64 v[14:15], v[160:161], v[88:89]
	v_add_f64 v[66:67], v[66:67], -v[86:87]
	v_add_f64 v[160:161], v[90:91], -v[150:151]
	v_add_f64 v[12:13], v[12:13], v[64:65]
	v_fma_f64 v[82:83], v[82:83], -0.5, v[10:11]
	v_add_f64 v[64:65], v[64:65], -v[70:71]
	v_add_f64 v[10:11], v[8:9], v[86:87]
	v_fma_f64 v[86:87], v[156:157], s[4:5], v[54:55]
	v_fma_f64 v[54:55], v[156:157], s[16:17], v[54:55]
	v_add_f64 v[156:157], v[90:91], -v[76:77]
	v_add_f64 v[8:9], v[12:13], v[70:71]
	v_add_f64 v[12:13], v[162:163], v[90:91]
	v_fma_f64 v[70:71], v[152:153], s[16:17], v[52:53]
	v_fma_f64 v[52:53], v[152:153], s[4:5], v[52:53]
	v_add_f64 v[152:153], v[14:15], v[148:149]
	v_add_f64 v[90:91], v[76:77], -v[90:91]
	v_add_f64 v[76:77], v[76:77], -v[34:35]
	;; [unrolled: 1-line block ×3, first 2 shown]
	v_add_f64 v[64:65], v[78:79], v[64:65]
	v_add_f64 v[66:67], v[72:73], v[66:67]
	v_fma_f64 v[86:87], v[154:155], s[12:13], v[86:87]
	v_add_f64 v[12:13], v[12:13], v[150:151]
	v_add_f64 v[150:151], v[34:35], -v[150:151]
	v_fma_f64 v[70:71], v[68:69], s[2:3], v[70:71]
	v_fma_f64 v[68:69], v[68:69], s[12:13], v[52:53]
	;; [unrolled: 1-line block ×3, first 2 shown]
	v_add_f64 v[72:73], v[156:157], v[162:163]
	v_add_f64 v[14:15], v[12:13], v[34:35]
	;; [unrolled: 1-line block ×3, first 2 shown]
	v_add_f64 v[34:35], v[88:89], -v[74:75]
	v_add_f64 v[152:153], v[88:89], -v[148:149]
	;; [unrolled: 1-line block ×5, first 2 shown]
	v_add_f64 v[78:79], v[90:91], v[150:151]
	v_fma_f64 v[90:91], v[76:77], s[2:3], v[52:53]
	v_add_f64 v[34:35], v[34:35], v[165:166]
	v_fma_f64 v[52:53], v[152:153], s[4:5], v[82:83]
	;; [unrolled: 2-line block ×3, first 2 shown]
	v_fma_f64 v[54:55], v[160:161], s[4:5], v[80:81]
	v_fma_f64 v[80:81], v[76:77], s[4:5], v[84:85]
	;; [unrolled: 1-line block ×25, first 2 shown]
	ds_write_b128 v92, v[16:19]
	ds_write_b128 v92, v[8:11] offset:2016
	ds_write_b128 v92, v[12:15] offset:4032
	;; [unrolled: 1-line block ×14, first 2 shown]
	s_waitcnt lgkmcnt(0)
	s_barrier
	buffer_gl0_inv
	global_load_dwordx4 v[10:13], v[170:171], off offset:1568
	v_add_co_u32 v8, s1, 0xb000, v93
	v_add_co_ci_u32_e64 v9, s1, 0, v94, s1
	ds_read_b128 v[148:151], v92
	ds_read_b128 v[152:155], v92 offset:2016
	global_load_dwordx4 v[14:17], v[8:9], off offset:304
	v_add_co_u32 v8, s1, 0x7620, v93
	v_add_co_ci_u32_e64 v9, s1, 0, v94, s1
	v_add_co_u32 v22, s1, 0xb800, v93
	v_add_co_ci_u32_e64 v23, s1, 0, v94, s1
	global_load_dwordx4 v[18:21], v[8:9], off offset:2016
	v_add_co_u32 v26, s1, 0x8000, v93
	global_load_dwordx4 v[22:25], v[22:23], off offset:272
	v_add_co_ci_u32_e64 v27, s1, 0, v94, s1
	global_load_dwordx4 v[36:39], v[26:27], off offset:1504
	v_add_co_u32 v26, s1, 0xc000, v93
	v_add_co_ci_u32_e64 v27, s1, 0, v94, s1
	global_load_dwordx4 v[40:43], v[26:27], off offset:240
	v_add_co_u32 v26, s1, 0x8800, v93
	;; [unrolled: 3-line block ×5, first 2 shown]
	v_add_co_ci_u32_e64 v27, s1, 0, v94, s1
	global_load_dwordx4 v[156:159], v[26:27], off offset:112
	ds_read_b128 v[160:163], v92 offset:15120
	ds_read_b128 v[165:168], v92 offset:12096
	s_waitcnt vmcnt(9) lgkmcnt(3)
	v_mul_f64 v[26:27], v[150:151], v[12:13]
	v_mul_f64 v[12:13], v[148:149], v[12:13]
	s_waitcnt vmcnt(8) lgkmcnt(1)
	v_mul_f64 v[64:65], v[162:163], v[16:17]
	v_fma_f64 v[148:149], v[148:149], v[10:11], -v[26:27]
	v_fma_f64 v[150:151], v[150:151], v[10:11], v[12:13]
	v_mul_f64 v[12:13], v[160:161], v[16:17]
	s_waitcnt vmcnt(7)
	v_mul_f64 v[26:27], v[154:155], v[20:21]
	v_mul_f64 v[20:21], v[152:153], v[20:21]
	v_fma_f64 v[10:11], v[160:161], v[14:15], -v[64:65]
	v_fma_f64 v[12:13], v[162:163], v[14:15], v[12:13]
	ds_read_b128 v[14:17], v92 offset:17136
	ds_read_b128 v[160:163], v92 offset:19152
	v_fma_f64 v[152:153], v[152:153], v[18:19], -v[26:27]
	v_fma_f64 v[154:155], v[154:155], v[18:19], v[20:21]
	ds_read_b128 v[18:21], v92 offset:4032
	s_waitcnt vmcnt(6) lgkmcnt(2)
	v_mul_f64 v[64:65], v[16:17], v[24:25]
	v_mul_f64 v[24:25], v[14:15], v[24:25]
	v_fma_f64 v[14:15], v[14:15], v[22:23], -v[64:65]
	v_fma_f64 v[16:17], v[16:17], v[22:23], v[24:25]
	ds_read_b128 v[22:25], v92 offset:6048
	s_waitcnt vmcnt(5) lgkmcnt(1)
	v_mul_f64 v[26:27], v[20:21], v[38:39]
	v_mul_f64 v[38:39], v[18:19], v[38:39]
	s_waitcnt vmcnt(4)
	v_mul_f64 v[64:65], v[162:163], v[42:43]
	s_waitcnt vmcnt(3) lgkmcnt(0)
	v_mul_f64 v[66:67], v[24:25], v[46:47]
	v_mul_f64 v[46:47], v[22:23], v[46:47]
	v_fma_f64 v[18:19], v[18:19], v[36:37], -v[26:27]
	v_mul_f64 v[26:27], v[160:161], v[42:43]
	v_fma_f64 v[20:21], v[20:21], v[36:37], v[38:39]
	v_fma_f64 v[36:37], v[160:161], v[40:41], -v[64:65]
	v_add_co_u32 v64, s1, 0xd000, v93
	v_add_co_ci_u32_e64 v65, s1, 0, v94, s1
	v_fma_f64 v[22:23], v[22:23], v[44:45], -v[66:67]
	v_fma_f64 v[24:25], v[24:25], v[44:45], v[46:47]
	v_fma_f64 v[38:39], v[162:163], v[40:41], v[26:27]
	ds_read_b128 v[40:43], v92 offset:21168
	ds_read_b128 v[160:163], v92 offset:23184
	;; [unrolled: 1-line block ×3, first 2 shown]
	s_waitcnt vmcnt(2) lgkmcnt(2)
	v_mul_f64 v[26:27], v[42:43], v[50:51]
	v_mul_f64 v[50:51], v[40:41], v[50:51]
	v_fma_f64 v[40:41], v[40:41], v[48:49], -v[26:27]
	v_fma_f64 v[42:43], v[42:43], v[48:49], v[50:51]
	ds_read_b128 v[48:51], v92 offset:10080
	s_waitcnt vmcnt(1) lgkmcnt(1)
	v_mul_f64 v[26:27], v[46:47], v[54:55]
	v_mul_f64 v[54:55], v[44:45], v[54:55]
	v_fma_f64 v[44:45], v[44:45], v[52:53], -v[26:27]
	v_fma_f64 v[46:47], v[46:47], v[52:53], v[54:55]
	global_load_dwordx4 v[52:55], v[64:65], off offset:176
	v_add_co_u32 v26, s1, 0x9800, v93
	v_add_co_ci_u32_e64 v27, s1, 0, v94, s1
	global_load_dwordx4 v[68:71], v[26:27], off offset:1408
	s_waitcnt vmcnt(1)
	v_mul_f64 v[26:27], v[162:163], v[54:55]
	v_mul_f64 v[54:55], v[160:161], v[54:55]
	v_fma_f64 v[160:161], v[160:161], v[52:53], -v[26:27]
	v_fma_f64 v[162:163], v[162:163], v[52:53], v[54:55]
	s_waitcnt vmcnt(0) lgkmcnt(0)
	v_mul_f64 v[52:53], v[48:49], v[70:71]
	v_mul_f64 v[26:27], v[50:51], v[70:71]
	v_add_co_u32 v54, s1, 0xd800, v93
	v_add_co_ci_u32_e64 v55, s1, 0, v94, s1
	v_fma_f64 v[50:51], v[50:51], v[68:69], v[52:53]
	global_load_dwordx4 v[52:55], v[54:55], off offset:144
	v_fma_f64 v[48:49], v[48:49], v[68:69], -v[26:27]
	v_add_co_u32 v26, s1, 0xa000, v93
	v_add_co_ci_u32_e64 v27, s1, 0, v94, s1
	global_load_dwordx4 v[68:71], v[26:27], off offset:1376
	ds_read_b128 v[72:75], v92 offset:25200
	ds_read_b128 v[76:79], v92 offset:27216
	s_waitcnt lgkmcnt(0)
	v_mul_f64 v[64:65], v[76:77], v[158:159]
	s_waitcnt vmcnt(1)
	v_mul_f64 v[26:27], v[74:75], v[54:55]
	v_mul_f64 v[54:55], v[72:73], v[54:55]
	v_fma_f64 v[72:73], v[72:73], v[52:53], -v[26:27]
	s_waitcnt vmcnt(0)
	v_mul_f64 v[26:27], v[167:168], v[70:71]
	v_fma_f64 v[74:75], v[74:75], v[52:53], v[54:55]
	v_mul_f64 v[54:55], v[165:166], v[70:71]
	v_fma_f64 v[70:71], v[78:79], v[156:157], v[64:65]
	v_fma_f64 v[52:53], v[165:166], v[68:69], -v[26:27]
	v_mul_f64 v[26:27], v[78:79], v[158:159]
	v_fma_f64 v[54:55], v[167:168], v[68:69], v[54:55]
	v_fma_f64 v[68:69], v[76:77], v[156:157], -v[26:27]
	ds_write_b128 v92, v[148:151]
	ds_write_b128 v92, v[10:13] offset:15120
	ds_write_b128 v92, v[152:155] offset:2016
	ds_write_b128 v92, v[14:17] offset:17136
	ds_write_b128 v92, v[18:21] offset:4032
	ds_write_b128 v92, v[36:39] offset:19152
	ds_write_b128 v92, v[22:25] offset:6048
	ds_write_b128 v92, v[40:43] offset:21168
	ds_write_b128 v92, v[44:47] offset:8064
	ds_write_b128 v92, v[160:163] offset:23184
	ds_write_b128 v92, v[48:51] offset:10080
	ds_write_b128 v92, v[72:75] offset:25200
	ds_write_b128 v92, v[52:55] offset:12096
	ds_write_b128 v92, v[68:71] offset:27216
	s_and_saveexec_b32 s2, vcc_lo
	s_cbranch_execz .LBB0_13
; %bb.12:
	v_add_co_u32 v10, s1, 0x3000, v8
	v_add_co_ci_u32_e64 v11, s1, 0, v9, s1
	v_add_co_u32 v12, s1, 0x7000, v8
	v_add_co_ci_u32_e64 v13, s1, 0, v9, s1
	s_clause 0x1
	global_load_dwordx4 v[8:11], v[10:11], off offset:1824
	global_load_dwordx4 v[12:15], v[12:13], off offset:560
	ds_read_b128 v[16:19], v92 offset:14112
	ds_read_b128 v[20:23], v92 offset:29232
	s_waitcnt vmcnt(1) lgkmcnt(1)
	v_mul_f64 v[24:25], v[18:19], v[10:11]
	v_mul_f64 v[10:11], v[16:17], v[10:11]
	s_waitcnt vmcnt(0) lgkmcnt(0)
	v_mul_f64 v[26:27], v[22:23], v[14:15]
	v_mul_f64 v[36:37], v[20:21], v[14:15]
	v_fma_f64 v[14:15], v[16:17], v[8:9], -v[24:25]
	v_fma_f64 v[16:17], v[18:19], v[8:9], v[10:11]
	v_fma_f64 v[8:9], v[20:21], v[12:13], -v[26:27]
	v_fma_f64 v[10:11], v[22:23], v[12:13], v[36:37]
	ds_write_b128 v92, v[14:17] offset:14112
	ds_write_b128 v92, v[8:11] offset:29232
.LBB0_13:
	s_or_b32 exec_lo, exec_lo, s2
	s_waitcnt lgkmcnt(0)
	s_barrier
	buffer_gl0_inv
	ds_read_b128 v[40:43], v92
	ds_read_b128 v[44:47], v92 offset:2016
	ds_read_b128 v[156:159], v92 offset:17136
	;; [unrolled: 1-line block ×13, first 2 shown]
	buffer_load_dword v64, off, s[36:39], 0 offset:468 ; 4-byte Folded Reload
	s_waitcnt vmcnt(0)
	v_add_nc_u32_e32 v166, 0x4ec0, v64
	v_add_nc_u32_e32 v165, 0x5e80, v64
	s_and_saveexec_b32 s1, vcc_lo
	s_cbranch_execz .LBB0_15
; %bb.14:
	ds_read_b128 v[32:35], v92 offset:14112
	ds_read_b128 v[28:31], v92 offset:29232
.LBB0_15:
	s_or_b32 exec_lo, exec_lo, s1
	s_waitcnt lgkmcnt(0)
	s_barrier
	buffer_gl0_inv
	s_clause 0x3
	buffer_load_dword v64, off, s[36:39], 0 offset:316
	buffer_load_dword v65, off, s[36:39], 0 offset:320
	;; [unrolled: 1-line block ×4, first 2 shown]
	v_add_f64 v[68:69], v[40:41], -v[160:161]
	v_add_f64 v[70:71], v[42:43], -v[162:163]
	;; [unrolled: 1-line block ×16, first 2 shown]
	v_fma_f64 v[40:41], v[40:41], 2.0, -v[68:69]
	v_fma_f64 v[42:43], v[42:43], 2.0, -v[70:71]
	;; [unrolled: 1-line block ×14, first 2 shown]
	s_waitcnt vmcnt(3)
	ds_write_b128 v64, v[68:71] offset:16
	buffer_load_dword v68, off, s[36:39], 0 offset:336 ; 4-byte Folded Reload
	s_waitcnt vmcnt(3)
	ds_write_b128 v65, v[72:75] offset:16
	s_waitcnt vmcnt(2)
	ds_write_b128 v66, v[76:79] offset:16
	;; [unrolled: 2-line block ×4, first 2 shown]
	ds_write_b128 v166, v[20:23] offset:16
	ds_write_b128 v64, v[40:43]
	ds_write_b128 v65, v[44:47]
	;; [unrolled: 1-line block ×7, first 2 shown]
	ds_write_b128 v165, v[16:19] offset:16
	s_and_saveexec_b32 s1, vcc_lo
	s_cbranch_execz .LBB0_17
; %bb.16:
	buffer_load_dword v12, off, s[36:39], 0 offset:332 ; 4-byte Folded Reload
	v_fma_f64 v[10:11], v[34:35], 2.0, -v[30:31]
	v_fma_f64 v[8:9], v[32:33], 2.0, -v[28:29]
	s_waitcnt vmcnt(0)
	ds_write_b128 v12, v[8:11]
	ds_write_b128 v12, v[28:31] offset:16
.LBB0_17:
	s_or_b32 exec_lo, exec_lo, s1
	s_waitcnt lgkmcnt(0)
	s_barrier
	buffer_gl0_inv
	ds_read_b128 v[8:11], v92 offset:10080
	ds_read_b128 v[12:15], v92 offset:8064
	;; [unrolled: 1-line block ×4, first 2 shown]
	s_mov_b32 s2, 0xe8584caa
	s_mov_b32 s3, 0xbfebb67a
	;; [unrolled: 1-line block ×4, first 2 shown]
	s_waitcnt lgkmcnt(3)
	v_mul_f64 v[24:25], v[62:63], v[10:11]
	v_mul_f64 v[26:27], v[62:63], v[8:9]
	v_fma_f64 v[24:25], v[60:61], v[8:9], v[24:25]
	v_fma_f64 v[26:27], v[60:61], v[10:11], -v[26:27]
	s_waitcnt lgkmcnt(1)
	v_mul_f64 v[8:9], v[62:63], v[18:19]
	v_mul_f64 v[10:11], v[62:63], v[16:17]
	v_fma_f64 v[40:41], v[60:61], v[16:17], v[8:9]
	v_fma_f64 v[42:43], v[60:61], v[18:19], -v[10:11]
	;; [unrolled: 5-line block ×3, first 2 shown]
	ds_read_b128 v[8:11], v92 offset:16128
	ds_read_b128 v[16:19], v92 offset:18144
	s_waitcnt lgkmcnt(1)
	v_mul_f64 v[20:21], v[62:63], v[10:11]
	v_fma_f64 v[48:49], v[60:61], v[8:9], v[20:21]
	v_mul_f64 v[8:9], v[62:63], v[8:9]
	v_fma_f64 v[50:51], v[60:61], v[10:11], -v[8:9]
	s_waitcnt lgkmcnt(0)
	v_mul_f64 v[8:9], v[62:63], v[18:19]
	v_fma_f64 v[52:53], v[60:61], v[16:17], v[8:9]
	v_mul_f64 v[8:9], v[62:63], v[16:17]
	v_fma_f64 v[54:55], v[60:61], v[18:19], -v[8:9]
	ds_read_b128 v[8:11], v92 offset:20160
	ds_read_b128 v[16:19], v92 offset:22176
	s_waitcnt lgkmcnt(1)
	v_mul_f64 v[20:21], v[58:59], v[10:11]
	v_fma_f64 v[20:21], v[56:57], v[8:9], v[20:21]
	v_mul_f64 v[8:9], v[58:59], v[8:9]
	v_add_f64 v[36:37], v[24:25], -v[20:21]
	v_fma_f64 v[22:23], v[56:57], v[10:11], -v[8:9]
	s_waitcnt lgkmcnt(0)
	v_mul_f64 v[8:9], v[58:59], v[18:19]
	v_add_f64 v[34:35], v[26:27], v[22:23]
	v_fma_f64 v[60:61], v[56:57], v[16:17], v[8:9]
	v_mul_f64 v[8:9], v[58:59], v[16:17]
	v_fma_f64 v[62:63], v[56:57], v[18:19], -v[8:9]
	ds_read_b128 v[8:11], v92 offset:24192
	ds_read_b128 v[16:19], v92 offset:26208
	s_waitcnt lgkmcnt(1)
	v_mul_f64 v[32:33], v[58:59], v[10:11]
	v_fma_f64 v[64:65], v[56:57], v[8:9], v[32:33]
	v_mul_f64 v[8:9], v[58:59], v[8:9]
	v_add_f64 v[32:33], v[24:25], v[20:21]
	v_fma_f64 v[66:67], v[56:57], v[10:11], -v[8:9]
	s_waitcnt lgkmcnt(0)
	v_mul_f64 v[8:9], v[58:59], v[18:19]
	v_fma_f64 v[68:69], v[56:57], v[16:17], v[8:9]
	v_mul_f64 v[8:9], v[58:59], v[16:17]
	v_fma_f64 v[70:71], v[56:57], v[18:19], -v[8:9]
	ds_read_b128 v[8:11], v92 offset:28224
	s_waitcnt lgkmcnt(0)
	v_mul_f64 v[16:17], v[58:59], v[10:11]
	v_fma_f64 v[72:73], v[56:57], v[8:9], v[16:17]
	v_mul_f64 v[8:9], v[58:59], v[8:9]
	v_fma_f64 v[56:57], v[56:57], v[10:11], -v[8:9]
	ds_read_b128 v[8:11], v92
	ds_read_b128 v[16:19], v92 offset:2016
	s_waitcnt lgkmcnt(1)
	v_fma_f64 v[32:33], v[32:33], -0.5, v[8:9]
	v_fma_f64 v[34:35], v[34:35], -0.5, v[10:11]
	v_add_f64 v[10:11], v[10:11], v[26:27]
	v_add_f64 v[8:9], v[8:9], v[24:25]
	v_add_f64 v[26:27], v[26:27], -v[22:23]
	v_add_f64 v[10:11], v[10:11], v[22:23]
	v_add_f64 v[8:9], v[8:9], v[20:21]
	v_fma_f64 v[20:21], v[26:27], s[2:3], v[32:33]
	v_fma_f64 v[24:25], v[26:27], s[4:5], v[32:33]
	;; [unrolled: 1-line block ×4, first 2 shown]
	ds_read_b128 v[32:35], v92 offset:4032
	ds_read_b128 v[36:39], v92 offset:6048
	s_waitcnt lgkmcnt(0)
	s_barrier
	buffer_gl0_inv
	buffer_load_dword v58, off, s[36:39], 0 offset:504 ; 4-byte Folded Reload
	s_waitcnt vmcnt(0)
	ds_write_b128 v58, v[8:11]
	ds_write_b128 v58, v[20:23] offset:32
	ds_write_b128 v58, v[24:27] offset:64
	v_add_f64 v[8:9], v[40:41], v[60:61]
	v_add_f64 v[24:25], v[40:41], -v[60:61]
	v_fma_f64 v[20:21], v[8:9], -0.5, v[16:17]
	v_add_f64 v[8:9], v[42:43], v[62:63]
	v_add_f64 v[16:17], v[16:17], v[40:41]
	v_fma_f64 v[22:23], v[8:9], -0.5, v[18:19]
	v_add_f64 v[8:9], v[18:19], v[42:43]
	v_add_f64 v[18:19], v[42:43], -v[62:63]
	v_add_f64 v[10:11], v[8:9], v[62:63]
	v_add_f64 v[8:9], v[16:17], v[60:61]
	v_fma_f64 v[16:17], v[18:19], s[2:3], v[20:21]
	v_fma_f64 v[20:21], v[18:19], s[4:5], v[20:21]
	;; [unrolled: 1-line block ×4, first 2 shown]
	buffer_load_dword v24, off, s[36:39], 0 offset:488 ; 4-byte Folded Reload
	s_waitcnt vmcnt(0)
	ds_write_b128 v24, v[8:11]
	ds_write_b128 v24, v[16:19] offset:32
	ds_write_b128 v24, v[20:23] offset:64
	v_add_f64 v[8:9], v[44:45], v[64:65]
	v_add_f64 v[16:17], v[32:33], v[44:45]
	v_add_f64 v[20:21], v[46:47], -v[66:67]
	v_add_f64 v[24:25], v[44:45], -v[64:65]
	;; [unrolled: 1-line block ×3, first 2 shown]
	v_fma_f64 v[18:19], v[8:9], -0.5, v[32:33]
	v_add_f64 v[8:9], v[46:47], v[66:67]
	v_add_f64 v[32:33], v[36:37], v[48:49]
	v_fma_f64 v[22:23], v[8:9], -0.5, v[34:35]
	v_add_f64 v[8:9], v[34:35], v[46:47]
	v_add_f64 v[10:11], v[8:9], v[66:67]
	;; [unrolled: 1-line block ×3, first 2 shown]
	v_fma_f64 v[16:17], v[20:21], s[2:3], v[18:19]
	v_fma_f64 v[20:21], v[20:21], s[4:5], v[18:19]
	;; [unrolled: 1-line block ×4, first 2 shown]
	v_add_f64 v[24:25], v[48:49], v[68:69]
	v_fma_f64 v[34:35], v[24:25], -0.5, v[36:37]
	v_add_f64 v[24:25], v[50:51], v[70:71]
	v_add_f64 v[36:37], v[50:51], -v[70:71]
	v_fma_f64 v[40:41], v[24:25], -0.5, v[38:39]
	v_add_f64 v[24:25], v[38:39], v[50:51]
	v_add_f64 v[38:39], v[48:49], -v[68:69]
	v_add_f64 v[48:49], v[52:53], -v[72:73]
	v_add_f64 v[26:27], v[24:25], v[70:71]
	v_add_f64 v[24:25], v[32:33], v[68:69]
	v_fma_f64 v[32:33], v[36:37], s[2:3], v[34:35]
	v_fma_f64 v[36:37], v[36:37], s[4:5], v[34:35]
	;; [unrolled: 1-line block ×4, first 2 shown]
	v_add_f64 v[40:41], v[52:53], v[72:73]
	v_fma_f64 v[42:43], v[40:41], -0.5, v[12:13]
	v_add_f64 v[40:41], v[54:55], v[56:57]
	v_add_f64 v[12:13], v[12:13], v[52:53]
	v_fma_f64 v[46:47], v[40:41], -0.5, v[14:15]
	v_fma_f64 v[40:41], v[44:45], s[2:3], v[42:43]
	v_fma_f64 v[44:45], v[44:45], s[4:5], v[42:43]
	v_add_f64 v[14:15], v[14:15], v[54:55]
	v_add_f64 v[12:13], v[12:13], v[72:73]
	v_fma_f64 v[42:43], v[48:49], s[4:5], v[46:47]
	v_fma_f64 v[46:47], v[48:49], s[2:3], v[46:47]
	buffer_load_dword v48, off, s[36:39], 0 offset:472 ; 4-byte Folded Reload
	v_add_f64 v[14:15], v[14:15], v[56:57]
	s_waitcnt vmcnt(0)
	ds_write_b128 v48, v[8:11]
	ds_write_b128 v48, v[16:19] offset:32
	ds_write_b128 v48, v[20:23] offset:64
	buffer_load_dword v8, off, s[36:39], 0 offset:496 ; 4-byte Folded Reload
	s_waitcnt vmcnt(0)
	ds_write_b128 v8, v[24:27]
	ds_write_b128 v8, v[32:35] offset:32
	ds_write_b128 v8, v[36:39] offset:64
	buffer_load_dword v8, off, s[36:39], 0 offset:484 ; 4-byte Folded Reload
	s_waitcnt vmcnt(0)
	ds_write_b128 v8, v[12:15]
	ds_write_b128 v8, v[40:43] offset:32
	ds_write_b128 v8, v[44:47] offset:64
	s_waitcnt lgkmcnt(0)
	s_barrier
	buffer_gl0_inv
	ds_read_b128 v[8:11], v92 offset:10080
	ds_read_b128 v[12:15], v92 offset:20160
	;; [unrolled: 1-line block ×3, first 2 shown]
	s_clause 0x3
	buffer_load_dword v44, off, s[36:39], 0 offset:340
	buffer_load_dword v45, off, s[36:39], 0 offset:344
	;; [unrolled: 1-line block ×4, first 2 shown]
	ds_read_b128 v[20:23], v92 offset:12096
	ds_read_b128 v[24:27], v92 offset:22176
	s_clause 0x3
	buffer_load_dword v52, off, s[36:39], 0 offset:388
	buffer_load_dword v53, off, s[36:39], 0 offset:392
	;; [unrolled: 1-line block ×4, first 2 shown]
	ds_read_b128 v[32:35], v92 offset:14112
	s_clause 0x7
	buffer_load_dword v64, off, s[36:39], 0 offset:420
	buffer_load_dword v65, off, s[36:39], 0 offset:424
	;; [unrolled: 1-line block ×8, first 2 shown]
	s_waitcnt vmcnt(12) lgkmcnt(5)
	v_mul_f64 v[36:37], v[46:47], v[10:11]
	v_mul_f64 v[38:39], v[46:47], v[8:9]
	s_waitcnt vmcnt(8) lgkmcnt(4)
	v_mul_f64 v[40:41], v[54:55], v[14:15]
	v_mul_f64 v[42:43], v[54:55], v[12:13]
	s_waitcnt vmcnt(4) lgkmcnt(2)
	v_mul_f64 v[46:47], v[66:67], v[20:21]
	s_waitcnt vmcnt(0) lgkmcnt(1)
	v_mul_f64 v[48:49], v[58:59], v[26:27]
	v_mul_f64 v[50:51], v[58:59], v[24:25]
	v_fma_f64 v[36:37], v[44:45], v[8:9], v[36:37]
	v_fma_f64 v[38:39], v[44:45], v[10:11], -v[38:39]
	ds_read_b128 v[8:11], v92 offset:24192
	s_clause 0x3
	buffer_load_dword v60, off, s[36:39], 0 offset:372
	buffer_load_dword v61, off, s[36:39], 0 offset:376
	;; [unrolled: 1-line block ×4, first 2 shown]
	v_mul_f64 v[44:45], v[66:67], v[22:23]
	v_fma_f64 v[40:41], v[52:53], v[12:13], v[40:41]
	v_fma_f64 v[42:43], v[52:53], v[14:15], -v[42:43]
	v_fma_f64 v[46:47], v[64:65], v[22:23], -v[46:47]
	ds_read_b128 v[12:15], v92 offset:16128
	v_fma_f64 v[48:49], v[56:57], v[24:25], v[48:49]
	v_fma_f64 v[50:51], v[56:57], v[26:27], -v[50:51]
	v_fma_f64 v[44:45], v[64:65], v[20:21], v[44:45]
	ds_read_b128 v[20:23], v92 offset:26208
	v_add_f64 v[84:85], v[36:37], -v[40:41]
	v_add_f64 v[88:89], v[44:45], -v[48:49]
	s_waitcnt vmcnt(0) lgkmcnt(3)
	v_mul_f64 v[52:53], v[62:63], v[34:35]
	v_mul_f64 v[54:55], v[62:63], v[32:33]
	s_clause 0x3
	buffer_load_dword v62, off, s[36:39], 0 offset:356
	buffer_load_dword v63, off, s[36:39], 0 offset:360
	;; [unrolled: 1-line block ×4, first 2 shown]
	ds_read_b128 v[24:27], v92 offset:18144
	s_clause 0x3
	buffer_load_dword v70, off, s[36:39], 0 offset:436
	buffer_load_dword v71, off, s[36:39], 0 offset:440
	;; [unrolled: 1-line block ×4, first 2 shown]
	v_fma_f64 v[52:53], v[60:61], v[32:33], v[52:53]
	v_fma_f64 v[54:55], v[60:61], v[34:35], -v[54:55]
	s_waitcnt lgkmcnt(0)
	v_mul_f64 v[66:67], v[118:119], v[24:25]
	v_fma_f64 v[66:67], v[116:117], v[26:27], -v[66:67]
	s_waitcnt vmcnt(4)
	v_mul_f64 v[56:57], v[64:65], v[10:11]
	v_mul_f64 v[58:59], v[64:65], v[8:9]
	s_waitcnt vmcnt(0)
	v_mul_f64 v[32:33], v[72:73], v[14:15]
	v_mul_f64 v[34:35], v[72:73], v[12:13]
	s_clause 0x3
	buffer_load_dword v72, off, s[36:39], 0 offset:452
	buffer_load_dword v73, off, s[36:39], 0 offset:456
	;; [unrolled: 1-line block ×4, first 2 shown]
	v_mul_f64 v[64:65], v[118:119], v[26:27]
	v_add_f64 v[26:27], v[46:47], v[50:51]
	v_fma_f64 v[56:57], v[62:63], v[8:9], v[56:57]
	v_fma_f64 v[58:59], v[62:63], v[10:11], -v[58:59]
	ds_read_b128 v[8:11], v92 offset:28224
	v_fma_f64 v[68:69], v[70:71], v[12:13], v[32:33]
	v_fma_f64 v[70:71], v[70:71], v[14:15], -v[34:35]
	ds_read_b128 v[12:15], v92
	v_fma_f64 v[64:65], v[116:117], v[24:25], v[64:65]
	v_add_f64 v[24:25], v[44:45], v[48:49]
	s_waitcnt lgkmcnt(1)
	v_mul_f64 v[32:33], v[114:115], v[10:11]
	v_mul_f64 v[34:35], v[114:115], v[8:9]
	v_add_f64 v[114:115], v[54:55], v[58:59]
	v_fma_f64 v[80:81], v[112:113], v[8:9], v[32:33]
	v_fma_f64 v[82:83], v[112:113], v[10:11], -v[34:35]
	v_add_f64 v[112:113], v[52:53], v[56:57]
	s_waitcnt vmcnt(0)
	v_mul_f64 v[60:61], v[74:75], v[22:23]
	v_mul_f64 v[62:63], v[74:75], v[20:21]
	v_add_f64 v[74:75], v[38:39], v[42:43]
	v_fma_f64 v[60:61], v[72:73], v[20:21], v[60:61]
	v_fma_f64 v[62:63], v[72:73], v[22:23], -v[62:63]
	ds_read_b128 v[20:23], v92 offset:2016
	v_add_f64 v[72:73], v[36:37], v[40:41]
	s_waitcnt lgkmcnt(1)
	v_add_f64 v[76:77], v[12:13], v[36:37]
	v_add_f64 v[78:79], v[14:15], v[38:39]
	v_add_f64 v[38:39], v[38:39], -v[42:43]
	v_fma_f64 v[74:75], v[74:75], -0.5, v[14:15]
	s_waitcnt lgkmcnt(0)
	v_add_f64 v[32:33], v[20:21], v[44:45]
	v_add_f64 v[34:35], v[22:23], v[46:47]
	v_fma_f64 v[86:87], v[24:25], -0.5, v[20:21]
	v_fma_f64 v[72:73], v[72:73], -0.5, v[12:13]
	v_add_f64 v[20:21], v[76:77], v[40:41]
	v_add_f64 v[76:77], v[68:69], v[60:61]
	ds_read_b128 v[8:11], v92 offset:4032
	ds_read_b128 v[12:15], v92 offset:6048
	v_add_f64 v[46:47], v[46:47], -v[50:51]
	v_fma_f64 v[90:91], v[26:27], -0.5, v[22:23]
	v_add_f64 v[22:23], v[78:79], v[42:43]
	v_add_f64 v[78:79], v[70:71], v[62:63]
	s_waitcnt lgkmcnt(0)
	s_barrier
	buffer_gl0_inv
	v_add_f64 v[24:25], v[32:33], v[48:49]
	v_add_f64 v[26:27], v[34:35], v[50:51]
	v_fma_f64 v[34:35], v[84:85], s[4:5], v[74:75]
	v_fma_f64 v[32:33], v[38:39], s[2:3], v[72:73]
	;; [unrolled: 1-line block ×4, first 2 shown]
	v_add_f64 v[74:75], v[12:13], v[68:69]
	v_fma_f64 v[76:77], v[76:77], -0.5, v[12:13]
	v_add_f64 v[12:13], v[66:67], v[82:83]
	v_fma_f64 v[40:41], v[46:47], s[2:3], v[86:87]
	v_fma_f64 v[44:45], v[46:47], s[4:5], v[86:87]
	;; [unrolled: 1-line block ×4, first 2 shown]
	v_add_f64 v[48:49], v[8:9], v[52:53]
	v_fma_f64 v[50:51], v[112:113], -0.5, v[8:9]
	v_fma_f64 v[72:73], v[114:115], -0.5, v[10:11]
	;; [unrolled: 1-line block ×3, first 2 shown]
	v_add_f64 v[84:85], v[14:15], v[70:71]
	v_add_f64 v[8:9], v[64:65], v[80:81]
	;; [unrolled: 1-line block ×3, first 2 shown]
	v_add_f64 v[14:15], v[54:55], -v[58:59]
	v_add_f64 v[90:91], v[16:17], v[64:65]
	v_add_f64 v[10:11], v[10:11], v[54:55]
	v_add_f64 v[54:55], v[70:71], -v[62:63]
	v_add_f64 v[68:69], v[68:69], -v[60:61]
	;; [unrolled: 1-line block ×4, first 2 shown]
	v_fma_f64 v[88:89], v[12:13], -0.5, v[18:19]
	v_add_f64 v[18:19], v[52:53], -v[56:57]
	v_fma_f64 v[86:87], v[8:9], -0.5, v[16:17]
	v_add_f64 v[8:9], v[48:49], v[56:57]
	v_fma_f64 v[12:13], v[14:15], s[2:3], v[50:51]
	v_fma_f64 v[16:17], v[14:15], s[4:5], v[50:51]
	v_add_f64 v[10:11], v[10:11], v[58:59]
	v_add_f64 v[48:49], v[74:75], v[60:61]
	;; [unrolled: 1-line block ×3, first 2 shown]
	v_fma_f64 v[52:53], v[54:55], s[2:3], v[76:77]
	v_fma_f64 v[56:57], v[54:55], s[4:5], v[76:77]
	;; [unrolled: 1-line block ×4, first 2 shown]
	v_add_f64 v[60:61], v[90:91], v[80:81]
	v_add_f64 v[62:63], v[112:113], v[82:83]
	v_fma_f64 v[14:15], v[18:19], s[4:5], v[72:73]
	v_fma_f64 v[18:19], v[18:19], s[2:3], v[72:73]
	buffer_load_dword v72, off, s[36:39], 0 offset:476 ; 4-byte Folded Reload
	s_waitcnt vmcnt(0)
	ds_write_b128 v72, v[20:23]
	ds_write_b128 v72, v[32:35] offset:96
	ds_write_b128 v72, v[36:39] offset:192
	buffer_load_dword v20, off, s[36:39], 0 offset:508 ; 4-byte Folded Reload
	v_fma_f64 v[64:65], v[66:67], s[2:3], v[86:87]
	v_fma_f64 v[68:69], v[66:67], s[4:5], v[86:87]
	;; [unrolled: 1-line block ×4, first 2 shown]
	s_waitcnt vmcnt(0)
	ds_write_b128 v20, v[24:27]
	ds_write_b128 v20, v[40:43] offset:96
	ds_write_b128 v20, v[44:47] offset:192
	buffer_load_dword v20, off, s[36:39], 0 offset:500 ; 4-byte Folded Reload
	s_waitcnt vmcnt(0)
	ds_write_b128 v20, v[8:11]
	ds_write_b128 v20, v[12:15] offset:96
	ds_write_b128 v20, v[16:19] offset:192
	buffer_load_dword v8, off, s[36:39], 0 offset:492 ; 4-byte Folded Reload
	;; [unrolled: 5-line block ×3, first 2 shown]
	s_waitcnt vmcnt(0)
	ds_write_b128 v8, v[60:63]
	ds_write_b128 v8, v[64:67] offset:96
	ds_write_b128 v8, v[68:71] offset:192
	s_waitcnt lgkmcnt(0)
	s_barrier
	buffer_gl0_inv
	ds_read_b128 v[8:11], v92 offset:10080
	ds_read_b128 v[12:15], v92 offset:20160
	;; [unrolled: 1-line block ×9, first 2 shown]
	s_waitcnt lgkmcnt(8)
	v_mul_f64 v[48:49], v[106:107], v[10:11]
	s_waitcnt lgkmcnt(7)
	v_mul_f64 v[50:51], v[110:111], v[14:15]
	v_mul_f64 v[52:53], v[106:107], v[8:9]
	;; [unrolled: 1-line block ×3, first 2 shown]
	s_waitcnt lgkmcnt(4)
	v_mul_f64 v[60:61], v[98:99], v[26:27]
	v_mul_f64 v[64:65], v[102:103], v[22:23]
	;; [unrolled: 1-line block ×4, first 2 shown]
	s_waitcnt lgkmcnt(3)
	v_mul_f64 v[68:69], v[122:123], v[34:35]
	v_mul_f64 v[70:71], v[122:123], v[32:33]
	s_waitcnt lgkmcnt(2)
	v_mul_f64 v[74:75], v[126:127], v[36:37]
	s_waitcnt lgkmcnt(1)
	v_mul_f64 v[76:77], v[134:135], v[42:43]
	v_mul_f64 v[78:79], v[134:135], v[40:41]
	s_waitcnt lgkmcnt(0)
	v_mul_f64 v[80:81], v[130:131], v[46:47]
	v_mul_f64 v[82:83], v[130:131], v[44:45]
	;; [unrolled: 1-line block ×3, first 2 shown]
	v_fma_f64 v[56:57], v[104:105], v[8:9], v[48:49]
	v_fma_f64 v[58:59], v[108:109], v[12:13], v[50:51]
	v_fma_f64 v[52:53], v[104:105], v[10:11], -v[52:53]
	v_fma_f64 v[54:55], v[108:109], v[14:15], -v[54:55]
	ds_read_b128 v[8:11], v92 offset:18144
	ds_read_b128 v[12:15], v92 offset:28224
	v_fma_f64 v[60:61], v[96:97], v[24:25], v[60:61]
	v_fma_f64 v[64:65], v[100:101], v[20:21], v[64:65]
	ds_read_b128 v[48:51], v92
	v_fma_f64 v[62:63], v[96:97], v[26:27], -v[62:63]
	ds_read_b128 v[24:27], v92 offset:2016
	v_fma_f64 v[66:67], v[100:101], v[22:23], -v[66:67]
	v_fma_f64 v[68:69], v[120:121], v[32:33], v[68:69]
	v_fma_f64 v[70:71], v[120:121], v[34:35], -v[70:71]
	v_fma_f64 v[74:75], v[124:125], v[38:39], -v[74:75]
	v_fma_f64 v[76:77], v[132:133], v[40:41], v[76:77]
	v_fma_f64 v[42:43], v[132:133], v[42:43], -v[78:79]
	v_fma_f64 v[78:79], v[128:129], v[44:45], v[80:81]
	;; [unrolled: 2-line block ×3, first 2 shown]
	v_add_f64 v[84:85], v[56:57], v[58:59]
	s_waitcnt lgkmcnt(3)
	v_mul_f64 v[86:87], v[142:143], v[10:11]
	v_add_f64 v[88:89], v[52:53], v[54:55]
	s_waitcnt lgkmcnt(2)
	v_mul_f64 v[90:91], v[138:139], v[14:15]
	v_mul_f64 v[98:99], v[142:143], v[8:9]
	;; [unrolled: 1-line block ×3, first 2 shown]
	s_waitcnt lgkmcnt(1)
	v_add_f64 v[20:21], v[48:49], v[56:57]
	v_add_f64 v[34:35], v[52:53], -v[54:55]
	v_add_f64 v[38:39], v[50:51], v[52:53]
	v_add_f64 v[46:47], v[56:57], -v[58:59]
	v_add_f64 v[52:53], v[60:61], v[64:65]
	v_fma_f64 v[22:23], v[84:85], -0.5, v[48:49]
	v_fma_f64 v[44:45], v[140:141], v[8:9], v[86:87]
	v_fma_f64 v[40:41], v[88:89], -0.5, v[50:51]
	v_fma_f64 v[56:57], v[136:137], v[12:13], v[90:91]
	s_waitcnt lgkmcnt(0)
	v_add_f64 v[50:51], v[24:25], v[60:61]
	v_fma_f64 v[48:49], v[140:141], v[10:11], -v[98:99]
	ds_read_b128 v[8:11], v92 offset:4032
	v_fma_f64 v[82:83], v[136:137], v[14:15], -v[96:97]
	ds_read_b128 v[12:15], v92 offset:6048
	v_add_f64 v[84:85], v[62:63], v[66:67]
	v_fma_f64 v[24:25], v[52:53], -0.5, v[24:25]
	v_add_f64 v[52:53], v[26:27], v[62:63]
	v_add_f64 v[86:87], v[68:69], v[72:73]
	s_waitcnt lgkmcnt(0)
	s_barrier
	buffer_gl0_inv
	v_add_f64 v[20:21], v[20:21], v[58:59]
	v_add_f64 v[88:89], v[70:71], v[74:75]
	v_add_f64 v[60:61], v[60:61], -v[64:65]
	v_add_f64 v[58:59], v[76:77], v[78:79]
	v_add_f64 v[90:91], v[42:43], v[80:81]
	v_add_f64 v[96:97], v[42:43], -v[80:81]
	v_fma_f64 v[32:33], v[34:35], s[2:3], v[22:23]
	v_fma_f64 v[36:37], v[34:35], s[4:5], v[22:23]
	v_add_f64 v[22:23], v[38:39], v[54:55]
	v_fma_f64 v[34:35], v[46:47], s[4:5], v[40:41]
	v_add_f64 v[54:55], v[44:45], v[56:57]
	;; [unrolled: 2-line block ×3, first 2 shown]
	v_add_f64 v[50:51], v[62:63], -v[66:67]
	v_add_f64 v[62:63], v[8:9], v[68:69]
	v_add_f64 v[68:69], v[68:69], -v[72:73]
	v_add_f64 v[100:101], v[16:17], v[44:45]
	v_fma_f64 v[26:27], v[84:85], -0.5, v[26:27]
	v_add_f64 v[98:99], v[14:15], v[42:43]
	v_add_f64 v[42:43], v[52:53], v[66:67]
	v_fma_f64 v[64:65], v[86:87], -0.5, v[8:9]
	v_add_f64 v[84:85], v[70:71], -v[74:75]
	v_add_f64 v[70:71], v[10:11], v[70:71]
	v_fma_f64 v[86:87], v[88:89], -0.5, v[10:11]
	v_add_f64 v[88:89], v[12:13], v[76:77]
	v_fma_f64 v[58:59], v[58:59], -0.5, v[12:13]
	v_fma_f64 v[90:91], v[90:91], -0.5, v[14:15]
	v_add_f64 v[46:47], v[48:49], v[82:83]
	v_add_f64 v[106:107], v[18:19], v[48:49]
	v_add_f64 v[110:111], v[44:45], -v[56:57]
	v_add_f64 v[76:77], v[76:77], -v[78:79]
	;; [unrolled: 1-line block ×3, first 2 shown]
	v_fma_f64 v[102:103], v[54:55], -0.5, v[16:17]
	v_fma_f64 v[8:9], v[50:51], s[2:3], v[24:25]
	v_add_f64 v[16:17], v[62:63], v[72:73]
	buffer_load_dword v72, off, s[36:39], 0 offset:512 ; 4-byte Folded Reload
	v_fma_f64 v[12:13], v[50:51], s[4:5], v[24:25]
	v_fma_f64 v[10:11], v[60:61], s[4:5], v[26:27]
	;; [unrolled: 1-line block ×3, first 2 shown]
	v_add_f64 v[50:51], v[98:99], v[80:81]
	s_waitcnt vmcnt(0)
	ds_write_b128 v72, v[20:23]
	ds_write_b128 v72, v[32:35] offset:288
	ds_write_b128 v72, v[36:39] offset:576
	buffer_load_dword v20, off, s[36:39], 0 offset:516 ; 4-byte Folded Reload
	v_fma_f64 v[108:109], v[46:47], -0.5, v[18:19]
	v_add_f64 v[18:19], v[70:71], v[74:75]
	v_fma_f64 v[24:25], v[84:85], s[2:3], v[64:65]
	v_fma_f64 v[26:27], v[68:69], s[4:5], v[86:87]
	;; [unrolled: 1-line block ×4, first 2 shown]
	v_add_f64 v[48:49], v[88:89], v[78:79]
	v_fma_f64 v[52:53], v[96:97], s[2:3], v[58:59]
	v_fma_f64 v[54:55], v[76:77], s[4:5], v[90:91]
	;; [unrolled: 1-line block ×4, first 2 shown]
	v_add_f64 v[64:65], v[100:101], v[56:57]
	v_add_f64 v[66:67], v[106:107], v[82:83]
	v_fma_f64 v[68:69], v[104:105], s[2:3], v[102:103]
	v_fma_f64 v[56:57], v[104:105], s[4:5], v[102:103]
	s_waitcnt vmcnt(0)
	ds_write_b128 v20, v[40:43]
	ds_write_b128 v20, v[8:11] offset:288
	ds_write_b128 v20, v[12:15] offset:576
	buffer_load_dword v8, off, s[36:39], 0 offset:520 ; 4-byte Folded Reload
	v_fma_f64 v[70:71], v[110:111], s[4:5], v[108:109]
	v_fma_f64 v[58:59], v[110:111], s[2:3], v[108:109]
	s_waitcnt vmcnt(0)
	ds_write_b128 v8, v[16:19]
	ds_write_b128 v8, v[24:27] offset:288
	ds_write_b128 v8, v[44:47] offset:576
	buffer_load_dword v8, off, s[36:39], 0 offset:524 ; 4-byte Folded Reload
	s_waitcnt vmcnt(0)
	ds_write_b128 v8, v[48:51]
	ds_write_b128 v8, v[52:55] offset:288
	ds_write_b128 v8, v[60:63] offset:576
	buffer_load_dword v8, off, s[36:39], 0 offset:528 ; 4-byte Folded Reload
	s_waitcnt vmcnt(0)
	ds_write_b128 v8, v[64:67]
	ds_write_b128 v8, v[68:71] offset:288
	ds_write_b128 v8, v[56:59] offset:576
	s_waitcnt lgkmcnt(0)
	s_barrier
	buffer_gl0_inv
	ds_read_b128 v[36:39], v92
	ds_read_b128 v[32:35], v92 offset:2016
	ds_read_b128 v[88:91], v92 offset:4320
	;; [unrolled: 1-line block ×13, first 2 shown]
	s_and_saveexec_b32 s1, s0
	s_cbranch_execz .LBB0_19
; %bb.18:
	ds_read_b128 v[56:59], v92 offset:4032
	ds_read_b128 v[28:31], v92 offset:8352
	;; [unrolled: 1-line block ×3, first 2 shown]
	s_waitcnt lgkmcnt(0)
	buffer_store_dword v8, off, s[36:39], 0 offset:36 ; 4-byte Folded Spill
	buffer_store_dword v9, off, s[36:39], 0 offset:40 ; 4-byte Folded Spill
	buffer_store_dword v10, off, s[36:39], 0 offset:44 ; 4-byte Folded Spill
	buffer_store_dword v11, off, s[36:39], 0 offset:48 ; 4-byte Folded Spill
	ds_read_b128 v[8:11], v92 offset:16992
	s_waitcnt lgkmcnt(0)
	buffer_store_dword v8, off, s[36:39], 0 offset:4 ; 4-byte Folded Spill
	buffer_store_dword v9, off, s[36:39], 0 offset:8 ; 4-byte Folded Spill
	buffer_store_dword v10, off, s[36:39], 0 offset:12 ; 4-byte Folded Spill
	buffer_store_dword v11, off, s[36:39], 0 offset:16 ; 4-byte Folded Spill
	ds_read_b128 v[8:11], v92 offset:21312
	;; [unrolled: 6-line block ×4, first 2 shown]
	s_waitcnt lgkmcnt(0)
	buffer_store_dword v8, off, s[36:39], 0 offset:68 ; 4-byte Folded Spill
	buffer_store_dword v9, off, s[36:39], 0 offset:72 ; 4-byte Folded Spill
	;; [unrolled: 1-line block ×4, first 2 shown]
.LBB0_19:
	s_or_b32 exec_lo, exec_lo, s1
	s_waitcnt lgkmcnt(11)
	v_mul_f64 v[8:9], v[146:147], v[90:91]
	v_mul_f64 v[10:11], v[146:147], v[88:89]
	s_waitcnt lgkmcnt(9)
	v_mul_f64 v[12:13], v[238:239], v[82:83]
	v_mul_f64 v[14:15], v[238:239], v[80:81]
	;; [unrolled: 3-line block ×3, first 2 shown]
	v_mul_f64 v[20:21], v[246:247], v[78:79]
	v_mul_f64 v[22:23], v[246:247], v[76:77]
	;; [unrolled: 1-line block ×7, first 2 shown]
	s_waitcnt lgkmcnt(0)
	v_mul_f64 v[104:105], v[206:207], v[66:67]
	v_mul_f64 v[106:107], v[206:207], v[64:65]
	;; [unrolled: 1-line block ×3, first 2 shown]
	s_mov_b32 s14, 0x37e14327
	s_mov_b32 s2, 0x36b3c0b5
	;; [unrolled: 1-line block ×6, first 2 shown]
	v_fma_f64 v[8:9], v[144:145], v[88:89], v[8:9]
	v_fma_f64 v[10:11], v[144:145], v[90:91], -v[10:11]
	v_mul_f64 v[88:89], v[178:179], v[74:75]
	v_mul_f64 v[90:91], v[178:179], v[72:73]
	v_fma_f64 v[12:13], v[236:237], v[80:81], v[12:13]
	v_fma_f64 v[14:15], v[236:237], v[82:83], -v[14:15]
	v_mul_f64 v[80:81], v[190:191], v[52:53]
	v_fma_f64 v[16:17], v[252:253], v[84:85], v[16:17]
	v_fma_f64 v[18:19], v[252:253], v[86:87], -v[18:19]
	v_fma_f64 v[20:21], v[244:245], v[76:77], v[20:21]
	v_fma_f64 v[22:23], v[244:245], v[78:79], -v[22:23]
	v_mul_f64 v[76:77], v[194:195], v[50:51]
	v_mul_f64 v[78:79], v[194:195], v[48:49]
	v_fma_f64 v[24:25], v[172:173], v[68:69], v[24:25]
	v_fma_f64 v[26:27], v[172:173], v[70:71], -v[26:27]
	v_mul_f64 v[82:83], v[182:183], v[42:43]
	v_mul_f64 v[84:85], v[182:183], v[40:41]
	;; [unrolled: 1-line block ×3, first 2 shown]
	v_fma_f64 v[52:53], v[188:189], v[52:53], v[96:97]
	v_fma_f64 v[64:65], v[204:205], v[64:65], v[104:105]
	v_fma_f64 v[66:67], v[204:205], v[66:67], -v[106:107]
	v_fma_f64 v[60:61], v[200:201], v[60:61], v[100:101]
	v_fma_f64 v[62:63], v[200:201], v[62:63], -v[102:103]
	v_fma_f64 v[46:47], v[184:185], v[46:47], -v[98:99]
	v_fma_f64 v[68:69], v[176:177], v[72:73], v[88:89]
	v_fma_f64 v[70:71], v[176:177], v[74:75], -v[90:91]
	s_mov_b32 s16, 0x5476071b
	s_mov_b32 s17, 0x3fe77f67
	v_fma_f64 v[54:55], v[188:189], v[54:55], -v[80:81]
	v_add_f64 v[72:73], v[8:9], v[16:17]
	v_add_f64 v[74:75], v[10:11], v[18:19]
	;; [unrolled: 1-line block ×4, first 2 shown]
	v_fma_f64 v[48:49], v[192:193], v[48:49], v[76:77]
	v_fma_f64 v[50:51], v[192:193], v[50:51], -v[78:79]
	v_add_f64 v[12:13], v[12:13], -v[20:21]
	v_add_f64 v[14:15], v[14:15], -v[22:23]
	v_fma_f64 v[40:41], v[180:181], v[40:41], v[82:83]
	v_fma_f64 v[42:43], v[180:181], v[42:43], -v[84:85]
	v_fma_f64 v[44:45], v[184:185], v[44:45], v[86:87]
	v_add_f64 v[18:19], v[10:11], -v[18:19]
	v_add_f64 v[16:17], v[8:9], -v[16:17]
	s_mov_b32 s21, 0xbfe77f67
	s_mov_b32 s20, s16
	;; [unrolled: 1-line block ×4, first 2 shown]
	v_add_f64 v[76:77], v[24:25], v[68:69]
	v_add_f64 v[78:79], v[26:27], v[70:71]
	v_add_f64 v[20:21], v[68:69], -v[24:25]
	v_add_f64 v[22:23], v[70:71], -v[26:27]
	v_add_f64 v[24:25], v[52:53], v[64:65]
	v_add_f64 v[26:27], v[54:55], v[66:67]
	v_add_f64 v[52:53], v[52:53], -v[64:65]
	v_add_f64 v[80:81], v[88:89], v[72:73]
	v_add_f64 v[82:83], v[90:91], v[74:75]
	;; [unrolled: 3-line block ×3, first 2 shown]
	v_add_f64 v[48:49], v[48:49], -v[60:61]
	v_add_f64 v[50:51], v[50:51], -v[62:63]
	s_mov_b32 s22, 0xb247c609
	v_add_f64 v[62:63], v[40:41], v[44:45]
	v_add_f64 v[40:41], v[44:45], -v[40:41]
	v_add_f64 v[84:85], v[14:15], -v[18:19]
	s_mov_b32 s23, 0xbfd5d0dc
	s_mov_b32 s12, 0xaaaaaaaa
	;; [unrolled: 1-line block ×4, first 2 shown]
	v_add_f64 v[8:9], v[72:73], -v[76:77]
	v_add_f64 v[68:69], v[76:77], -v[88:89]
	;; [unrolled: 1-line block ×7, first 2 shown]
	v_add_f64 v[60:61], v[76:77], v[80:81]
	v_add_f64 v[76:77], v[78:79], v[82:83]
	;; [unrolled: 1-line block ×3, first 2 shown]
	v_add_f64 v[42:43], v[46:47], -v[42:43]
	v_add_f64 v[46:47], v[22:23], -v[14:15]
	v_add_f64 v[82:83], v[22:23], v[14:15]
	v_add_f64 v[14:15], v[64:65], v[24:25]
	v_add_f64 v[86:87], v[66:67], v[26:27]
	v_add_f64 v[80:81], v[20:21], v[12:13]
	v_add_f64 v[12:13], v[12:13], -v[16:17]
	v_add_f64 v[20:21], v[16:17], -v[20:21]
	;; [unrolled: 1-line block ×5, first 2 shown]
	s_mov_b32 s24, s22
	v_mul_f64 v[88:89], v[8:9], s[14:15]
	v_mul_f64 v[96:97], v[68:69], s[2:3]
	;; [unrolled: 1-line block ×5, first 2 shown]
	s_mov_b32 s26, 0x37c3f68c
	s_mov_b32 s27, 0xbfdc38aa
	v_add_f64 v[8:9], v[36:37], v[60:61]
	v_add_f64 v[10:11], v[38:39], v[76:77]
	v_add_f64 v[36:37], v[24:25], -v[62:63]
	v_add_f64 v[38:39], v[26:27], -v[78:79]
	;; [unrolled: 1-line block ×4, first 2 shown]
	v_add_f64 v[62:63], v[62:63], v[14:15]
	v_add_f64 v[78:79], v[78:79], v[86:87]
	v_mul_f64 v[46:47], v[46:47], s[18:19]
	v_add_f64 v[16:17], v[80:81], v[16:17]
	v_add_f64 v[18:19], v[82:83], v[18:19]
	v_mul_f64 v[80:81], v[12:13], s[4:5]
	v_mul_f64 v[82:83], v[84:85], s[4:5]
	v_add_f64 v[24:25], v[64:65], -v[24:25]
	v_add_f64 v[26:27], v[66:67], -v[26:27]
	v_fma_f64 v[68:69], v[68:69], s[2:3], v[88:89]
	v_fma_f64 v[86:87], v[72:73], s[16:17], -v[96:97]
	v_fma_f64 v[96:97], v[74:75], s[16:17], -v[98:99]
	;; [unrolled: 1-line block ×3, first 2 shown]
	v_add_f64 v[88:89], v[48:49], -v[52:53]
	v_add_f64 v[98:99], v[50:51], -v[54:55]
	v_fma_f64 v[70:71], v[70:71], s[2:3], v[90:91]
	v_fma_f64 v[74:75], v[74:75], s[20:21], -v[90:91]
	v_fma_f64 v[90:91], v[20:21], s[22:23], v[44:45]
	v_fma_f64 v[44:45], v[12:13], s[4:5], -v[44:45]
	v_add_f64 v[48:49], v[40:41], v[48:49]
	v_add_f64 v[50:51], v[42:43], v[50:51]
	v_add_f64 v[40:41], v[52:53], -v[40:41]
	v_add_f64 v[12:13], v[32:33], v[62:63]
	v_add_f64 v[14:15], v[34:35], v[78:79]
	v_mul_f64 v[32:33], v[36:37], s[14:15]
	v_mul_f64 v[34:35], v[38:39], s[14:15]
	;; [unrolled: 1-line block ×4, first 2 shown]
	v_add_f64 v[42:43], v[54:55], -v[42:43]
	v_mul_f64 v[64:65], v[106:107], s[18:19]
	v_mul_f64 v[66:67], v[104:105], s[18:19]
	v_fma_f64 v[60:61], v[60:61], s[12:13], v[8:9]
	v_fma_f64 v[76:77], v[76:77], s[12:13], v[10:11]
	;; [unrolled: 1-line block ×3, first 2 shown]
	v_fma_f64 v[20:21], v[20:21], s[24:25], -v[80:81]
	v_mul_f64 v[106:107], v[88:89], s[4:5]
	v_mul_f64 v[104:105], v[98:99], s[4:5]
	v_fma_f64 v[22:23], v[22:23], s[24:25], -v[82:83]
	v_fma_f64 v[46:47], v[84:85], s[4:5], -v[46:47]
	s_waitcnt_vscnt null, 0x0
	v_fma_f64 v[44:45], v[16:17], s[26:27], v[44:45]
	v_add_f64 v[48:49], v[48:49], v[52:53]
	v_add_f64 v[50:51], v[50:51], v[54:55]
	s_barrier
	v_fma_f64 v[52:53], v[62:63], s[12:13], v[12:13]
	v_fma_f64 v[54:55], v[78:79], s[12:13], v[14:15]
	;; [unrolled: 1-line block ×4, first 2 shown]
	v_fma_f64 v[36:37], v[24:25], s[16:17], -v[36:37]
	v_fma_f64 v[38:39], v[26:27], s[16:17], -v[38:39]
	;; [unrolled: 1-line block ×4, first 2 shown]
	v_fma_f64 v[32:33], v[42:43], s[22:23], v[64:65]
	v_fma_f64 v[34:35], v[40:41], s[22:23], v[66:67]
	v_fma_f64 v[64:65], v[98:99], s[4:5], -v[64:65]
	v_fma_f64 v[66:67], v[88:89], s[4:5], -v[66:67]
	v_add_f64 v[68:69], v[68:69], v[60:61]
	v_fma_f64 v[40:41], v[40:41], s[24:25], -v[106:107]
	v_fma_f64 v[42:43], v[42:43], s[24:25], -v[104:105]
	v_add_f64 v[70:71], v[70:71], v[76:77]
	v_add_f64 v[80:81], v[86:87], v[60:61]
	;; [unrolled: 1-line block ×5, first 2 shown]
	v_fma_f64 v[74:75], v[18:19], s[26:27], v[108:109]
	v_fma_f64 v[76:77], v[16:17], s[26:27], v[90:91]
	v_fma_f64 v[84:85], v[18:19], s[26:27], v[22:23]
	v_fma_f64 v[86:87], v[16:17], s[26:27], v[20:21]
	v_fma_f64 v[46:47], v[18:19], s[26:27], v[46:47]
	v_add_f64 v[88:89], v[62:63], v[52:53]
	v_add_f64 v[78:79], v[78:79], v[54:55]
	;; [unrolled: 1-line block ×5, first 2 shown]
	v_fma_f64 v[100:101], v[50:51], s[26:27], v[32:33]
	v_fma_f64 v[102:103], v[48:49], s[26:27], v[34:35]
	v_add_f64 v[90:91], v[38:39], v[54:55]
	v_fma_f64 v[64:65], v[50:51], s[26:27], v[64:65]
	v_fma_f64 v[66:67], v[48:49], s[26:27], v[66:67]
	;; [unrolled: 1-line block ×4, first 2 shown]
	buffer_gl0_inv
	v_add_f64 v[26:27], v[44:45], v[82:83]
	v_add_f64 v[34:35], v[82:83], -v[44:45]
	v_add_f64 v[16:17], v[74:75], v[68:69]
	v_add_f64 v[18:19], v[70:71], -v[76:77]
	;; [unrolled: 2-line block ×3, first 2 shown]
	v_add_f64 v[24:25], v[80:81], -v[46:47]
	v_add_f64 v[32:33], v[46:47], v[80:81]
	v_add_f64 v[36:37], v[60:61], -v[84:85]
	v_add_f64 v[38:39], v[86:87], v[72:73]
	;; [unrolled: 2-line block ×3, first 2 shown]
	v_add_f64 v[44:45], v[100:101], v[88:89]
	v_add_f64 v[46:47], v[78:79], -v[102:103]
	v_add_f64 v[68:69], v[88:89], -v[100:101]
	;; [unrolled: 1-line block ×3, first 2 shown]
	v_add_f64 v[54:55], v[66:67], v[90:91]
	v_add_f64 v[50:51], v[98:99], -v[106:107]
	v_add_f64 v[48:49], v[104:105], v[96:97]
	v_add_f64 v[60:61], v[64:65], v[62:63]
	v_add_f64 v[62:63], v[90:91], -v[66:67]
	v_add_f64 v[64:65], v[96:97], -v[104:105]
	v_add_f64 v[66:67], v[106:107], v[98:99]
	v_add_f64 v[70:71], v[102:103], v[78:79]
	ds_write_b128 v95, v[8:11]
	ds_write_b128 v95, v[16:19] offset:864
	ds_write_b128 v95, v[20:23] offset:1728
	;; [unrolled: 1-line block ×6, first 2 shown]
	ds_write_b128 v164, v[12:15]
	ds_write_b128 v164, v[44:47] offset:864
	ds_write_b128 v164, v[48:51] offset:1728
	ds_write_b128 v164, v[52:55] offset:2592
	ds_write_b128 v164, v[60:63] offset:3456
	ds_write_b128 v164, v[64:67] offset:4320
	ds_write_b128 v164, v[68:71] offset:5184
	s_and_saveexec_b32 s1, s0
	s_cbranch_execz .LBB0_21
; %bb.20:
	s_clause 0x1b
	buffer_load_dword v60, off, s[36:39], 0 offset:616
	buffer_load_dword v61, off, s[36:39], 0 offset:620
	;; [unrolled: 1-line block ×28, first 2 shown]
	s_waitcnt vmcnt(22)
	v_mul_f64 v[8:9], v[62:63], v[74:75]
	s_waitcnt vmcnt(20)
	v_mul_f64 v[18:19], v[62:63], v[76:77]
	;; [unrolled: 2-line block ×5, first 2 shown]
	v_mul_f64 v[22:23], v[52:53], v[72:73]
	s_clause 0xf
	buffer_load_dword v46, off, s[36:39], 0 offset:584
	buffer_load_dword v47, off, s[36:39], 0 offset:588
	;; [unrolled: 1-line block ×16, first 2 shown]
	v_mul_f64 v[10:11], v[38:39], v[28:29]
	v_mul_f64 v[16:17], v[38:39], v[30:31]
	v_fma_f64 v[8:9], v[60:61], v[76:77], -v[8:9]
	v_fma_f64 v[18:19], v[60:61], v[74:75], v[18:19]
	v_fma_f64 v[12:13], v[50:51], v[72:73], -v[12:13]
	v_fma_f64 v[14:15], v[40:41], v[68:69], -v[14:15]
	v_fma_f64 v[20:21], v[40:41], v[66:67], v[20:21]
	v_fma_f64 v[22:23], v[50:51], v[70:71], v[22:23]
	v_fma_f64 v[10:11], v[36:37], v[30:31], -v[10:11]
	v_fma_f64 v[16:17], v[36:37], v[28:29], v[16:17]
	v_add_f64 v[38:39], v[20:21], v[22:23]
	v_add_f64 v[20:21], v[20:21], -v[22:23]
	v_add_f64 v[36:37], v[16:17], v[18:19]
	v_add_f64 v[16:17], v[16:17], -v[18:19]
	s_waitcnt vmcnt(8)
	v_mul_f64 v[24:25], v[48:49], v[64:65]
	s_waitcnt vmcnt(0)
	v_mul_f64 v[26:27], v[44:45], v[54:55]
	v_mul_f64 v[32:33], v[44:45], v[52:53]
	;; [unrolled: 1-line block ×3, first 2 shown]
	v_fma_f64 v[24:25], v[46:47], v[62:63], v[24:25]
	v_fma_f64 v[26:27], v[42:43], v[52:53], v[26:27]
	v_fma_f64 v[28:29], v[42:43], v[54:55], -v[32:33]
	v_fma_f64 v[30:31], v[46:47], v[64:65], -v[34:35]
	v_add_f64 v[32:33], v[10:11], v[8:9]
	v_add_f64 v[34:35], v[14:15], v[12:13]
	v_add_f64 v[12:13], v[14:15], -v[12:13]
	v_add_f64 v[14:15], v[10:11], -v[8:9]
	v_add_f64 v[8:9], v[38:39], v[36:37]
	v_add_f64 v[42:43], v[20:21], -v[16:17]
	v_add_f64 v[40:41], v[24:25], -v[26:27]
	v_add_f64 v[24:25], v[26:27], v[24:25]
	v_add_f64 v[22:23], v[28:29], v[30:31]
	v_add_f64 v[26:27], v[30:31], -v[28:29]
	v_add_f64 v[18:19], v[34:35], v[32:33]
	v_add_f64 v[46:47], v[12:13], -v[14:15]
	v_mul_f64 v[52:53], v[42:43], s[4:5]
	v_add_f64 v[10:11], v[40:41], -v[20:21]
	v_add_f64 v[30:31], v[36:37], -v[24:25]
	;; [unrolled: 1-line block ×4, first 2 shown]
	v_add_f64 v[18:19], v[22:23], v[18:19]
	v_add_f64 v[22:23], v[22:23], -v[34:35]
	v_add_f64 v[48:49], v[24:25], v[8:9]
	v_add_f64 v[24:25], v[24:25], -v[38:39]
	v_add_f64 v[50:51], v[16:17], -v[40:41]
	v_add_f64 v[20:21], v[40:41], v[20:21]
	v_add_f64 v[12:13], v[26:27], v[12:13]
	v_add_f64 v[26:27], v[14:15], -v[26:27]
	v_add_f64 v[32:33], v[34:35], -v[32:33]
	v_mul_f64 v[54:55], v[46:47], s[4:5]
	v_add_f64 v[36:37], v[38:39], -v[36:37]
	v_mul_f64 v[40:41], v[10:11], s[18:19]
	v_mul_f64 v[30:31], v[30:31], s[14:15]
	;; [unrolled: 1-line block ×4, first 2 shown]
	v_add_f64 v[10:11], v[58:59], v[18:19]
	v_mul_f64 v[34:35], v[22:23], s[2:3]
	v_add_f64 v[8:9], v[56:57], v[48:49]
	v_mul_f64 v[38:39], v[24:25], s[2:3]
	v_add_f64 v[16:17], v[20:21], v[16:17]
	v_add_f64 v[12:13], v[12:13], v[14:15]
	v_fma_f64 v[14:15], v[50:51], s[22:23], v[40:41]
	v_fma_f64 v[40:41], v[42:43], s[4:5], -v[40:41]
	v_fma_f64 v[20:21], v[22:23], s[2:3], v[28:29]
	v_fma_f64 v[22:23], v[24:25], s[2:3], v[30:31]
	v_fma_f64 v[24:25], v[50:51], s[24:25], -v[52:53]
	v_fma_f64 v[18:19], v[18:19], s[12:13], v[10:11]
	v_fma_f64 v[28:29], v[32:33], s[20:21], -v[28:29]
	v_fma_f64 v[32:33], v[32:33], s[16:17], -v[34:35]
	v_fma_f64 v[34:35], v[26:27], s[22:23], v[44:45]
	v_fma_f64 v[26:27], v[26:27], s[24:25], -v[54:55]
	;; [unrolled: 3-line block ×3, first 2 shown]
	v_fma_f64 v[36:37], v[36:37], s[16:17], -v[38:39]
	v_fma_f64 v[38:39], v[16:17], s[26:27], v[14:15]
	v_fma_f64 v[24:25], v[16:17], s[26:27], v[24:25]
	;; [unrolled: 1-line block ×3, first 2 shown]
	v_add_f64 v[20:21], v[20:21], v[18:19]
	v_add_f64 v[28:29], v[28:29], v[18:19]
	v_fma_f64 v[40:41], v[12:13], s[26:27], v[34:35]
	v_fma_f64 v[46:47], v[12:13], s[26:27], v[26:27]
	;; [unrolled: 1-line block ×3, first 2 shown]
	v_add_f64 v[32:33], v[32:33], v[18:19]
	v_add_f64 v[48:49], v[30:31], v[44:45]
	;; [unrolled: 1-line block ×6, first 2 shown]
	v_add_f64 v[30:31], v[28:29], -v[24:25]
	v_add_f64 v[34:35], v[20:21], -v[38:39]
	v_add_f64 v[22:23], v[32:33], -v[16:17]
	v_add_f64 v[26:27], v[16:17], v[32:33]
	v_add_f64 v[24:25], v[36:37], -v[12:13]
	v_add_f64 v[20:21], v[12:13], v[36:37]
	buffer_load_dword v37, off, s[36:39], 0 offset:532 ; 4-byte Folded Reload
	v_add_f64 v[32:33], v[40:41], v[42:43]
	v_add_f64 v[28:29], v[46:47], v[48:49]
	v_add_f64 v[16:17], v[48:49], -v[46:47]
	v_add_f64 v[12:13], v[42:43], -v[40:41]
	v_mov_b32_e32 v36, 4
	s_waitcnt vmcnt(0)
	v_lshlrev_b32_sdwa v36, v36, v37 dst_sel:DWORD dst_unused:UNUSED_PAD src0_sel:DWORD src1_sel:WORD_0
	ds_write_b128 v36, v[8:11] offset:24192
	ds_write_b128 v36, v[32:35] offset:25056
	;; [unrolled: 1-line block ×7, first 2 shown]
.LBB0_21:
	s_or_b32 exec_lo, exec_lo, s1
	s_waitcnt lgkmcnt(0)
	s_barrier
	buffer_gl0_inv
	ds_read_b128 v[8:11], v92 offset:12096
	ds_read_b128 v[12:15], v92 offset:18144
	;; [unrolled: 1-line block ×4, first 2 shown]
	ds_read_b128 v[24:27], v92
	ds_read_b128 v[28:31], v92 offset:2016
	ds_read_b128 v[32:35], v92 offset:14112
	;; [unrolled: 1-line block ×10, first 2 shown]
	s_mov_b32 s4, 0x134454ff
	s_mov_b32 s5, 0xbfee6f0e
	;; [unrolled: 1-line block ×8, first 2 shown]
	s_waitcnt lgkmcnt(14)
	v_mul_f64 v[68:69], v[214:215], v[10:11]
	s_waitcnt lgkmcnt(13)
	v_mul_f64 v[70:71], v[218:219], v[14:15]
	;; [unrolled: 2-line block ×4, first 2 shown]
	v_mul_f64 v[76:77], v[214:215], v[8:9]
	v_mul_f64 v[78:79], v[218:219], v[12:13]
	;; [unrolled: 1-line block ×4, first 2 shown]
	s_waitcnt lgkmcnt(7)
	v_mul_f64 v[86:87], v[242:243], v[36:37]
	s_waitcnt lgkmcnt(5)
	v_mul_f64 v[95:96], v[6:7], v[46:47]
	;; [unrolled: 2-line block ×3, first 2 shown]
	v_mul_f64 v[6:7], v[6:7], v[44:45]
	s_waitcnt lgkmcnt(1)
	v_mul_f64 v[97:98], v[2:3], v[62:63]
	v_mul_f64 v[2:3], v[2:3], v[60:61]
	;; [unrolled: 1-line block ×3, first 2 shown]
	s_waitcnt lgkmcnt(0)
	v_mul_f64 v[99:100], v[230:231], v[64:65]
	v_mul_f64 v[90:91], v[250:251], v[52:53]
	s_mov_b32 s0, 0x372fe950
	s_mov_b32 s1, 0x3fd3c6ef
	v_fma_f64 v[8:9], v[212:213], v[8:9], v[68:69]
	v_fma_f64 v[12:13], v[216:217], v[12:13], v[70:71]
	;; [unrolled: 1-line block ×4, first 2 shown]
	v_fma_f64 v[10:11], v[212:213], v[10:11], -v[76:77]
	v_fma_f64 v[14:15], v[216:217], v[14:15], -v[78:79]
	v_mul_f64 v[70:71], v[234:235], v[34:35]
	v_mul_f64 v[74:75], v[226:227], v[58:59]
	;; [unrolled: 1-line block ×4, first 2 shown]
	v_fma_f64 v[18:19], v[196:197], v[18:19], -v[80:81]
	v_fma_f64 v[22:23], v[208:209], v[22:23], -v[82:83]
	v_fma_f64 v[48:49], v[220:221], v[48:49], v[84:85]
	v_mul_f64 v[76:77], v[226:227], v[56:57]
	v_mul_f64 v[80:81], v[230:231], v[66:67]
	;; [unrolled: 1-line block ×3, first 2 shown]
	v_fma_f64 v[44:45], v[4:5], v[44:45], v[95:96]
	v_fma_f64 v[46:47], v[4:5], v[46:47], -v[6:7]
	v_fma_f64 v[60:61], v[0:1], v[60:61], v[97:98]
	v_fma_f64 v[62:63], v[0:1], v[62:63], -v[2:3]
	v_fma_f64 v[38:39], v[240:241], v[38:39], -v[86:87]
	v_fma_f64 v[52:53], v[248:249], v[52:53], v[88:89]
	v_fma_f64 v[66:67], v[228:229], v[66:67], -v[99:100]
	v_add_f64 v[82:83], v[8:9], v[12:13]
	v_add_f64 v[0:1], v[24:25], v[16:17]
	;; [unrolled: 1-line block ×3, first 2 shown]
	v_fma_f64 v[54:55], v[248:249], v[54:55], -v[90:91]
	v_add_f64 v[84:85], v[10:11], v[14:15]
	v_fma_f64 v[32:33], v[232:233], v[32:33], v[70:71]
	v_fma_f64 v[56:57], v[224:225], v[56:57], v[74:75]
	v_fma_f64 v[50:51], v[220:221], v[50:51], -v[68:69]
	v_fma_f64 v[34:35], v[232:233], v[34:35], -v[72:73]
	v_add_f64 v[4:5], v[26:27], v[18:19]
	v_add_f64 v[2:3], v[18:19], -v[22:23]
	v_add_f64 v[6:7], v[18:19], v[22:23]
	v_add_f64 v[70:71], v[10:11], -v[14:15]
	v_add_f64 v[72:73], v[16:17], -v[20:21]
	v_fma_f64 v[64:65], v[228:229], v[64:65], v[80:81]
	v_fma_f64 v[36:37], v[240:241], v[36:37], v[78:79]
	v_fma_f64 v[58:59], v[224:225], v[58:59], -v[76:77]
	v_add_f64 v[76:77], v[16:17], -v[8:9]
	v_add_f64 v[78:79], v[20:21], -v[12:13]
	;; [unrolled: 1-line block ×5, first 2 shown]
	v_fma_f64 v[68:69], v[82:83], -0.5, v[24:25]
	v_add_f64 v[82:83], v[12:13], -v[20:21]
	v_fma_f64 v[24:25], v[101:102], -0.5, v[24:25]
	v_add_f64 v[18:19], v[10:11], -v[18:19]
	v_fma_f64 v[74:75], v[84:85], -0.5, v[26:27]
	v_add_f64 v[84:85], v[8:9], -v[12:13]
	v_add_f64 v[80:81], v[32:33], v[56:57]
	v_add_f64 v[0:1], v[0:1], v[8:9]
	;; [unrolled: 1-line block ×4, first 2 shown]
	v_add_f64 v[99:100], v[50:51], -v[38:39]
	v_fma_f64 v[6:7], v[6:7], -0.5, v[26:27]
	v_add_f64 v[95:96], v[14:15], -v[22:23]
	v_add_f64 v[111:112], v[30:31], v[50:51]
	v_add_f64 v[103:104], v[48:49], -v[32:33]
	v_add_f64 v[90:91], v[48:49], v[36:37]
	v_add_f64 v[113:114], v[34:35], v[58:59]
	v_add_f64 v[101:102], v[34:35], -v[58:59]
	v_add_f64 v[76:77], v[76:77], v[78:79]
	v_add_f64 v[107:108], v[32:33], -v[48:49]
	v_add_f64 v[48:49], v[48:49], -v[36:37]
	v_add_f64 v[78:79], v[86:87], v[88:89]
	v_fma_f64 v[8:9], v[2:3], s[4:5], v[68:69]
	v_fma_f64 v[10:11], v[2:3], s[14:15], v[68:69]
	;; [unrolled: 1-line block ×6, first 2 shown]
	v_fma_f64 v[80:81], v[80:81], -0.5, v[28:29]
	v_add_f64 v[16:17], v[16:17], v[82:83]
	v_add_f64 v[0:1], v[0:1], v[12:13]
	;; [unrolled: 1-line block ×4, first 2 shown]
	v_fma_f64 v[12:13], v[84:85], s[4:5], v[6:7]
	v_add_f64 v[86:87], v[44:45], v[60:61]
	v_add_f64 v[88:89], v[52:53], v[64:65]
	;; [unrolled: 1-line block ×3, first 2 shown]
	v_fma_f64 v[28:29], v[90:91], -0.5, v[28:29]
	v_add_f64 v[90:91], v[46:47], v[62:63]
	v_fma_f64 v[95:96], v[113:114], -0.5, v[30:31]
	v_add_f64 v[105:106], v[36:37], -v[56:57]
	v_add_f64 v[109:110], v[56:57], -v[36:37]
	;; [unrolled: 1-line block ×3, first 2 shown]
	v_fma_f64 v[8:9], v[70:71], s[2:3], v[8:9]
	v_fma_f64 v[10:11], v[70:71], s[12:13], v[10:11]
	v_fma_f64 v[14:15], v[2:3], s[2:3], v[26:27]
	v_fma_f64 v[24:25], v[2:3], s[12:13], v[24:25]
	v_fma_f64 v[26:27], v[84:85], s[12:13], v[68:69]
	v_fma_f64 v[68:69], v[84:85], s[2:3], v[74:75]
	v_fma_f64 v[70:71], v[84:85], s[14:15], v[6:7]
	v_add_f64 v[74:75], v[97:98], v[32:33]
	v_fma_f64 v[84:85], v[99:100], s[4:5], v[80:81]
	v_fma_f64 v[80:81], v[99:100], s[14:15], v[80:81]
	v_add_f64 v[97:98], v[54:55], v[66:67]
	v_add_f64 v[0:1], v[0:1], v[20:21]
	v_fma_f64 v[20:21], v[72:73], s[12:13], v[12:13]
	v_add_f64 v[2:3], v[4:5], v[22:23]
	v_fma_f64 v[115:116], v[101:102], s[14:15], v[28:29]
	v_fma_f64 v[28:29], v[101:102], s[4:5], v[28:29]
	;; [unrolled: 1-line block ×5, first 2 shown]
	v_add_f64 v[14:15], v[32:33], -v[56:57]
	v_fma_f64 v[6:7], v[78:79], s[0:1], v[26:27]
	v_fma_f64 v[26:27], v[82:83], -0.5, v[30:31]
	v_fma_f64 v[16:17], v[16:17], s[0:1], v[24:25]
	v_fma_f64 v[22:23], v[72:73], s[2:3], v[70:71]
	v_add_f64 v[24:25], v[74:75], v[56:57]
	v_add_f64 v[56:57], v[40:41], v[52:53]
	v_fma_f64 v[72:73], v[101:102], s[12:13], v[80:81]
	v_add_f64 v[80:81], v[42:43], v[54:55]
	v_fma_f64 v[10:11], v[78:79], s[0:1], v[68:69]
	v_fma_f64 v[30:31], v[101:102], s[2:3], v[84:85]
	v_fma_f64 v[68:69], v[86:87], -0.5, v[40:41]
	v_add_f64 v[70:71], v[54:55], -v[66:67]
	v_fma_f64 v[82:83], v[90:91], -0.5, v[42:43]
	v_add_f64 v[84:85], v[52:53], -v[64:65]
	v_add_f64 v[76:77], v[46:47], -v[62:63]
	v_fma_f64 v[40:41], v[88:89], -0.5, v[40:41]
	v_add_f64 v[88:89], v[44:45], -v[60:61]
	v_fma_f64 v[42:43], v[97:98], -0.5, v[42:43]
	v_add_f64 v[86:87], v[111:112], v[34:35]
	v_fma_f64 v[90:91], v[48:49], s[14:15], v[95:96]
	v_add_f64 v[97:98], v[50:51], -v[34:35]
	v_add_f64 v[101:102], v[38:39], -v[58:59]
	v_add_f64 v[32:33], v[103:104], v[105:106]
	v_fma_f64 v[103:104], v[14:15], s[4:5], v[26:27]
	v_add_f64 v[34:35], v[34:35], -v[50:51]
	v_add_f64 v[50:51], v[58:59], -v[38:39]
	v_fma_f64 v[26:27], v[14:15], s[14:15], v[26:27]
	v_fma_f64 v[95:96], v[48:49], s[4:5], v[95:96]
	v_add_f64 v[56:57], v[56:57], v[44:45]
	v_add_f64 v[80:81], v[80:81], v[46:47]
	v_fma_f64 v[74:75], v[99:100], s[2:3], v[115:116]
	v_add_f64 v[78:79], v[107:108], v[109:110]
	v_add_f64 v[107:108], v[52:53], -v[44:45]
	v_fma_f64 v[105:106], v[70:71], s[4:5], v[68:69]
	v_add_f64 v[109:110], v[64:65], -v[60:61]
	v_fma_f64 v[113:114], v[84:85], s[14:15], v[82:83]
	;; [unrolled: 2-line block ×3, first 2 shown]
	v_fma_f64 v[111:112], v[76:77], s[14:15], v[40:41]
	v_add_f64 v[44:45], v[44:45], -v[52:53]
	v_add_f64 v[52:53], v[60:61], -v[64:65]
	v_fma_f64 v[119:120], v[88:89], s[4:5], v[42:43]
	v_add_f64 v[46:47], v[46:47], -v[54:55]
	v_add_f64 v[54:55], v[62:63], -v[66:67]
	v_fma_f64 v[40:41], v[76:77], s[4:5], v[40:41]
	v_fma_f64 v[42:43], v[88:89], s[14:15], v[42:43]
	;; [unrolled: 1-line block ×3, first 2 shown]
	v_add_f64 v[58:59], v[86:87], v[58:59]
	v_fma_f64 v[86:87], v[14:15], s[12:13], v[90:91]
	v_add_f64 v[90:91], v[97:98], v[101:102]
	v_fma_f64 v[97:98], v[48:49], s[12:13], v[103:104]
	;; [unrolled: 2-line block ×3, first 2 shown]
	v_fma_f64 v[48:49], v[48:49], s[2:3], v[26:27]
	v_fma_f64 v[95:96], v[14:15], s[2:3], v[95:96]
	v_add_f64 v[56:57], v[56:57], v[60:61]
	v_add_f64 v[62:63], v[80:81], v[62:63]
	v_fma_f64 v[60:61], v[76:77], s[2:3], v[105:106]
	v_add_f64 v[101:102], v[107:108], v[109:110]
	v_fma_f64 v[80:81], v[88:89], s[12:13], v[113:114]
	v_add_f64 v[105:106], v[115:116], v[117:118]
	v_fma_f64 v[68:69], v[76:77], s[12:13], v[68:69]
	v_fma_f64 v[76:77], v[70:71], s[2:3], v[111:112]
	v_add_f64 v[103:104], v[44:45], v[52:53]
	v_fma_f64 v[107:108], v[84:85], s[12:13], v[119:120]
	v_add_f64 v[109:110], v[46:47], v[54:55]
	v_fma_f64 v[70:71], v[70:71], s[12:13], v[40:41]
	v_fma_f64 v[84:85], v[84:85], s[2:3], v[42:43]
	;; [unrolled: 1-line block ×5, first 2 shown]
	v_add_f64 v[20:21], v[24:25], v[36:37]
	v_add_f64 v[22:23], v[58:59], v[38:39]
	v_fma_f64 v[24:25], v[32:33], s[0:1], v[30:31]
	v_fma_f64 v[26:27], v[90:91], s[0:1], v[86:87]
	v_fma_f64 v[28:29], v[32:33], s[0:1], v[72:73]
	v_fma_f64 v[32:33], v[78:79], s[0:1], v[74:75]
	v_fma_f64 v[34:35], v[50:51], s[0:1], v[97:98]
	v_fma_f64 v[36:37], v[78:79], s[0:1], v[99:100]
	v_fma_f64 v[38:39], v[50:51], s[0:1], v[48:49]
	v_fma_f64 v[30:31], v[90:91], s[0:1], v[95:96]
	v_add_f64 v[40:41], v[56:57], v[64:65]
	v_add_f64 v[42:43], v[62:63], v[66:67]
	v_fma_f64 v[44:45], v[101:102], s[0:1], v[60:61]
	v_fma_f64 v[46:47], v[105:106], s[0:1], v[80:81]
	;; [unrolled: 1-line block ×8, first 2 shown]
	ds_write_b128 v92, v[0:3]
	ds_write_b128 v92, v[4:7] offset:6048
	ds_write_b128 v92, v[12:15] offset:12096
	;; [unrolled: 1-line block ×14, first 2 shown]
	s_waitcnt lgkmcnt(0)
	s_barrier
	buffer_gl0_inv
	ds_read_b128 v[0:3], v92
	ds_read_b128 v[4:7], v92 offset:2016
	s_clause 0x3
	buffer_load_dword v34, off, s[36:39], 0 offset:92
	buffer_load_dword v35, off, s[36:39], 0 offset:96
	;; [unrolled: 1-line block ×4, first 2 shown]
	ds_read_b128 v[8:11], v92 offset:15120
	s_clause 0x1
	buffer_load_dword v12, off, s[36:39], 0 offset:84
	buffer_load_dword v13, off, s[36:39], 0 offset:88
	v_mad_u64_u32 v[32:33], null, s8, v169, 0
	s_mov_b32 s2, 0xbc011567
	s_mov_b32 s3, 0x3f41566a
	s_mul_hi_u32 s1, s8, 0x3b1
	ds_read_b128 v[16:19], v92 offset:12096
	s_waitcnt vmcnt(2) lgkmcnt(3)
	v_mul_f64 v[20:21], v[36:37], v[2:3]
	v_mul_f64 v[22:23], v[36:37], v[0:1]
	s_waitcnt vmcnt(1)
	v_mov_b32_e32 v25, v12
	s_waitcnt vmcnt(0)
	ds_read_b128 v[12:15], v92 offset:17136
	s_clause 0x7
	buffer_load_dword v54, off, s[36:39], 0 offset:220
	buffer_load_dword v55, off, s[36:39], 0 offset:224
	;; [unrolled: 1-line block ×8, first 2 shown]
	v_mad_u64_u32 v[26:27], null, s10, v25, 0
	v_mov_b32_e32 v24, v27
	v_fma_f64 v[30:31], v[34:35], v[0:1], v[20:21]
	v_fma_f64 v[34:35], v[34:35], v[2:3], -v[22:23]
	ds_read_b128 v[0:3], v92 offset:19152
	v_mad_u64_u32 v[20:21], null, s11, v25, v[24:25]
	v_mov_b32_e32 v21, v33
	v_mad_u64_u32 v[46:47], null, s9, v169, v[21:22]
	v_mov_b32_e32 v27, v20
	v_mov_b32_e32 v33, v46
	v_mul_f64 v[24:25], v[30:31], s[2:3]
	s_waitcnt vmcnt(4) lgkmcnt(3)
	v_mul_f64 v[28:29], v[56:57], v[10:11]
	s_waitcnt vmcnt(0)
	v_mul_f64 v[38:39], v[50:51], v[6:7]
	v_mul_f64 v[40:41], v[50:51], v[4:5]
	s_clause 0x3
	buffer_load_dword v50, off, s[36:39], 0 offset:204
	buffer_load_dword v51, off, s[36:39], 0 offset:208
	;; [unrolled: 1-line block ×4, first 2 shown]
	v_mul_f64 v[36:37], v[56:57], v[8:9]
	ds_read_b128 v[20:23], v92 offset:4032
	v_fma_f64 v[8:9], v[54:55], v[8:9], v[28:29]
	v_lshlrev_b64 v[28:29], 4, v[26:27]
	v_mul_f64 v[26:27], v[34:35], s[2:3]
	v_fma_f64 v[30:31], v[48:49], v[4:5], v[38:39]
	v_fma_f64 v[10:11], v[54:55], v[10:11], -v[36:37]
	v_add_co_u32 v46, s0, s6, v28
	v_add_co_ci_u32_e64 v47, s0, s7, v29, s0
	v_lshlrev_b64 v[28:29], 4, v[32:33]
	v_fma_f64 v[32:33], v[48:49], v[6:7], -v[40:41]
	ds_read_b128 v[4:7], v92 offset:6048
	s_mul_i32 s6, s8, 0xfffffccd
	v_add_co_u32 v40, s0, v46, v28
	v_add_co_ci_u32_e64 v41, s0, v47, v29, s0
	s_mul_i32 s0, s9, 0x3b1
	v_mul_f64 v[8:9], v[8:9], s[2:3]
	s_add_i32 s1, s1, s0
	s_mul_i32 s0, s8, 0x3b1
	v_mul_f64 v[10:11], v[10:11], s[2:3]
	s_lshl_b64 s[4:5], s[0:1], 4
	s_mul_hi_u32 s0, s8, 0xfffffccd
	s_mul_i32 s1, s9, 0xfffffccd
	s_sub_i32 s0, s0, s8
	s_add_i32 s7, s0, s1
	s_lshl_b64 s[6:7], s[6:7], 4
	s_waitcnt vmcnt(0) lgkmcnt(3)
	v_mul_f64 v[42:43], v[52:53], v[14:15]
	v_mul_f64 v[44:45], v[52:53], v[12:13]
	v_fma_f64 v[34:35], v[50:51], v[12:13], v[42:43]
	v_fma_f64 v[36:37], v[50:51], v[14:15], -v[44:45]
	s_clause 0x3
	buffer_load_dword v48, off, s[36:39], 0 offset:172
	buffer_load_dword v49, off, s[36:39], 0 offset:176
	;; [unrolled: 1-line block ×4, first 2 shown]
	v_mul_f64 v[12:13], v[30:31], s[2:3]
	v_mul_f64 v[14:15], v[32:33], s[2:3]
	;; [unrolled: 1-line block ×4, first 2 shown]
	v_add_co_u32 v34, s0, v40, s4
	v_add_co_ci_u32_e64 v35, s0, s5, v41, s0
	s_waitcnt vmcnt(0) lgkmcnt(1)
	v_mul_f64 v[38:39], v[50:51], v[22:23]
	v_mul_f64 v[42:43], v[50:51], v[20:21]
	s_clause 0x3
	buffer_load_dword v50, off, s[36:39], 0 offset:188
	buffer_load_dword v51, off, s[36:39], 0 offset:192
	;; [unrolled: 1-line block ×4, first 2 shown]
	v_fma_f64 v[32:33], v[48:49], v[20:21], v[38:39]
	v_fma_f64 v[36:37], v[48:49], v[22:23], -v[42:43]
	ds_read_b128 v[20:23], v92 offset:21168
	s_clause 0x3
	buffer_load_dword v54, off, s[36:39], 0 offset:156
	buffer_load_dword v55, off, s[36:39], 0 offset:160
	;; [unrolled: 1-line block ×4, first 2 shown]
	v_add_co_u32 v38, s0, v34, s6
	v_add_co_ci_u32_e64 v39, s0, s7, v35, s0
	global_store_dwordx4 v[40:41], v[24:27], off
	s_waitcnt vmcnt(4)
	v_mul_f64 v[44:45], v[52:53], v[2:3]
	v_mul_f64 v[46:47], v[52:53], v[0:1]
	v_fma_f64 v[42:43], v[50:51], v[0:1], v[44:45]
	v_fma_f64 v[44:45], v[50:51], v[2:3], -v[46:47]
	v_add_co_u32 v50, s0, v38, s4
	v_add_co_ci_u32_e64 v51, s0, s5, v39, s0
	ds_read_b128 v[0:3], v92 offset:8064
	global_store_dwordx4 v[34:35], v[8:11], off
	global_store_dwordx4 v[38:39], v[12:15], off
	;; [unrolled: 1-line block ×3, first 2 shown]
	s_waitcnt vmcnt(0) lgkmcnt(2)
	v_mul_f64 v[46:47], v[56:57], v[6:7]
	v_mul_f64 v[48:49], v[56:57], v[4:5]
	ds_read_b128 v[12:15], v92 offset:23184
	s_clause 0x3
	buffer_load_dword v56, off, s[36:39], 0 offset:140
	buffer_load_dword v57, off, s[36:39], 0 offset:144
	;; [unrolled: 1-line block ×4, first 2 shown]
	v_mul_f64 v[10:11], v[36:37], s[2:3]
	ds_read_b128 v[24:27], v92 offset:10080
	ds_read_b128 v[28:31], v92 offset:25200
	;; [unrolled: 1-line block ×3, first 2 shown]
	s_clause 0x7
	buffer_load_dword v68, off, s[36:39], 0 offset:124
	buffer_load_dword v69, off, s[36:39], 0 offset:128
	buffer_load_dword v70, off, s[36:39], 0 offset:132
	buffer_load_dword v71, off, s[36:39], 0 offset:136
	buffer_load_dword v74, off, s[36:39], 0 offset:252
	buffer_load_dword v75, off, s[36:39], 0 offset:256
	buffer_load_dword v76, off, s[36:39], 0 offset:260
	buffer_load_dword v77, off, s[36:39], 0 offset:264
	v_mul_f64 v[8:9], v[32:33], s[2:3]
	v_add_co_u32 v50, s0, v50, s6
	v_add_co_ci_u32_e64 v51, s0, s7, v51, s0
	v_mul_f64 v[32:33], v[42:43], s[2:3]
	v_mul_f64 v[34:35], v[44:45], s[2:3]
	v_fma_f64 v[4:5], v[54:55], v[4:5], v[46:47]
	v_fma_f64 v[6:7], v[54:55], v[6:7], -v[48:49]
	v_add_co_u32 v46, s0, v50, s4
	v_add_co_ci_u32_e64 v47, s0, s5, v51, s0
	v_mul_f64 v[4:5], v[4:5], s[2:3]
	v_mul_f64 v[6:7], v[6:7], s[2:3]
	s_waitcnt vmcnt(8) lgkmcnt(5)
	v_mul_f64 v[40:41], v[58:59], v[22:23]
	v_mul_f64 v[52:53], v[58:59], v[20:21]
	s_waitcnt vmcnt(4) lgkmcnt(4)
	;; [unrolled: 3-line block ×3, first 2 shown]
	v_mul_f64 v[48:49], v[76:77], v[14:15]
	v_mul_f64 v[54:55], v[76:77], v[12:13]
	s_clause 0x7
	buffer_load_dword v70, off, s[36:39], 0 offset:236
	buffer_load_dword v71, off, s[36:39], 0 offset:240
	;; [unrolled: 1-line block ×8, first 2 shown]
	v_fma_f64 v[20:21], v[56:57], v[20:21], v[40:41]
	v_fma_f64 v[22:23], v[56:57], v[22:23], -v[52:53]
	v_fma_f64 v[12:13], v[74:75], v[12:13], v[48:49]
	v_fma_f64 v[14:15], v[74:75], v[14:15], -v[54:55]
	v_mul_f64 v[12:13], v[12:13], s[2:3]
	v_mul_f64 v[14:15], v[14:15], s[2:3]
	s_waitcnt vmcnt(4) lgkmcnt(2)
	v_mul_f64 v[40:41], v[72:73], v[26:27]
	s_waitcnt vmcnt(0) lgkmcnt(1)
	v_mul_f64 v[56:57], v[78:79], v[30:31]
	v_mul_f64 v[58:59], v[78:79], v[28:29]
	s_clause 0x3
	buffer_load_dword v78, off, s[36:39], 0 offset:284
	buffer_load_dword v79, off, s[36:39], 0 offset:288
	;; [unrolled: 1-line block ×4, first 2 shown]
	v_mul_f64 v[52:53], v[72:73], v[24:25]
	s_waitcnt vmcnt(0)
	v_mul_f64 v[60:61], v[80:81], v[18:19]
	v_mul_f64 v[62:63], v[80:81], v[16:17]
	s_clause 0x3
	buffer_load_dword v80, off, s[36:39], 0 offset:300
	buffer_load_dword v81, off, s[36:39], 0 offset:304
	;; [unrolled: 1-line block ×4, first 2 shown]
	global_store_dwordx4 v[50:51], v[8:11], off
	global_store_dwordx4 v[46:47], v[32:35], off
	v_fma_f64 v[8:9], v[68:69], v[0:1], v[42:43]
	v_fma_f64 v[10:11], v[68:69], v[2:3], -v[44:45]
	v_mul_f64 v[0:1], v[20:21], s[2:3]
	v_fma_f64 v[20:21], v[70:71], v[24:25], v[40:41]
	v_fma_f64 v[24:25], v[76:77], v[28:29], v[56:57]
	v_mul_f64 v[2:3], v[22:23], s[2:3]
	v_fma_f64 v[22:23], v[70:71], v[26:27], -v[52:53]
	v_add_co_u32 v32, s0, v46, s6
	v_fma_f64 v[26:27], v[76:77], v[30:31], -v[58:59]
	v_add_co_ci_u32_e64 v33, s0, s7, v47, s0
	global_store_dwordx4 v[32:33], v[4:7], off
	v_fma_f64 v[28:29], v[78:79], v[16:17], v[60:61]
	v_fma_f64 v[30:31], v[78:79], v[18:19], -v[62:63]
	v_mul_f64 v[8:9], v[8:9], s[2:3]
	v_mul_f64 v[10:11], v[10:11], s[2:3]
	;; [unrolled: 1-line block ×8, first 2 shown]
	s_waitcnt vmcnt(0) lgkmcnt(0)
	v_mul_f64 v[64:65], v[82:83], v[38:39]
	v_mul_f64 v[66:67], v[82:83], v[36:37]
	v_fma_f64 v[34:35], v[80:81], v[36:37], v[64:65]
	v_fma_f64 v[36:37], v[80:81], v[38:39], -v[66:67]
	v_add_co_u32 v38, s0, v32, s4
	v_add_co_ci_u32_e64 v39, s0, s5, v33, s0
	v_add_co_u32 v40, s0, v38, s6
	v_add_co_ci_u32_e64 v41, s0, s7, v39, s0
	global_store_dwordx4 v[38:39], v[0:3], off
	v_add_co_u32 v42, s0, v40, s4
	v_add_co_ci_u32_e64 v43, s0, s5, v41, s0
	global_store_dwordx4 v[40:41], v[8:11], off
	v_mul_f64 v[28:29], v[34:35], s[2:3]
	v_add_co_u32 v34, s0, v42, s6
	v_add_co_ci_u32_e64 v35, s0, s7, v43, s0
	v_mul_f64 v[30:31], v[36:37], s[2:3]
	v_add_co_u32 v4, s0, v34, s4
	v_add_co_ci_u32_e64 v5, s0, s5, v35, s0
	v_add_co_u32 v2, s0, v4, s6
	v_add_co_ci_u32_e64 v3, s0, s7, v5, s0
	;; [unrolled: 2-line block ×3, first 2 shown]
	global_store_dwordx4 v[42:43], v[12:15], off
	global_store_dwordx4 v[34:35], v[16:19], off
	global_store_dwordx4 v[4:5], v[20:23], off
	global_store_dwordx4 v[2:3], v[24:27], off
	global_store_dwordx4 v[0:1], v[28:31], off
	s_and_b32 exec_lo, exec_lo, vcc_lo
	s_cbranch_execz .LBB0_23
; %bb.22:
	v_add_co_u32 v2, vcc_lo, 0x3000, v93
	v_add_co_ci_u32_e32 v3, vcc_lo, 0, v94, vcc_lo
	global_load_dwordx4 v[2:5], v[2:3], off offset:1824
	ds_read_b128 v[6:9], v92 offset:14112
	ds_read_b128 v[10:13], v92 offset:29232
	s_waitcnt vmcnt(0) lgkmcnt(1)
	v_mul_f64 v[14:15], v[8:9], v[4:5]
	v_mul_f64 v[4:5], v[6:7], v[4:5]
	v_fma_f64 v[6:7], v[6:7], v[2:3], v[14:15]
	v_fma_f64 v[4:5], v[2:3], v[8:9], -v[4:5]
	v_mul_f64 v[2:3], v[6:7], s[2:3]
	v_mul_f64 v[4:5], v[4:5], s[2:3]
	v_add_co_u32 v6, vcc_lo, v0, s6
	v_add_co_ci_u32_e32 v7, vcc_lo, s7, v1, vcc_lo
	global_store_dwordx4 v[6:7], v[2:5], off
	global_load_dwordx4 v[0:3], v[170:171], off offset:560
	s_waitcnt vmcnt(0) lgkmcnt(0)
	v_mul_f64 v[4:5], v[12:13], v[2:3]
	v_mul_f64 v[2:3], v[10:11], v[2:3]
	v_fma_f64 v[4:5], v[10:11], v[0:1], v[4:5]
	v_fma_f64 v[2:3], v[0:1], v[12:13], -v[2:3]
	v_mul_f64 v[0:1], v[4:5], s[2:3]
	v_mul_f64 v[2:3], v[2:3], s[2:3]
	v_add_co_u32 v4, vcc_lo, v6, s4
	v_add_co_ci_u32_e32 v5, vcc_lo, s5, v7, vcc_lo
	global_store_dwordx4 v[4:5], v[0:3], off
.LBB0_23:
	s_endpgm
	.section	.rodata,"a",@progbits
	.p2align	6, 0x0
	.amdhsa_kernel bluestein_single_fwd_len1890_dim1_dp_op_CI_CI
		.amdhsa_group_segment_fixed_size 30240
		.amdhsa_private_segment_fixed_size 636
		.amdhsa_kernarg_size 104
		.amdhsa_user_sgpr_count 6
		.amdhsa_user_sgpr_private_segment_buffer 1
		.amdhsa_user_sgpr_dispatch_ptr 0
		.amdhsa_user_sgpr_queue_ptr 0
		.amdhsa_user_sgpr_kernarg_segment_ptr 1
		.amdhsa_user_sgpr_dispatch_id 0
		.amdhsa_user_sgpr_flat_scratch_init 0
		.amdhsa_user_sgpr_private_segment_size 0
		.amdhsa_wavefront_size32 1
		.amdhsa_uses_dynamic_stack 0
		.amdhsa_system_sgpr_private_segment_wavefront_offset 1
		.amdhsa_system_sgpr_workgroup_id_x 1
		.amdhsa_system_sgpr_workgroup_id_y 0
		.amdhsa_system_sgpr_workgroup_id_z 0
		.amdhsa_system_sgpr_workgroup_info 0
		.amdhsa_system_vgpr_workitem_id 0
		.amdhsa_next_free_vgpr 256
		.amdhsa_next_free_sgpr 40
		.amdhsa_reserve_vcc 1
		.amdhsa_reserve_flat_scratch 0
		.amdhsa_float_round_mode_32 0
		.amdhsa_float_round_mode_16_64 0
		.amdhsa_float_denorm_mode_32 3
		.amdhsa_float_denorm_mode_16_64 3
		.amdhsa_dx10_clamp 1
		.amdhsa_ieee_mode 1
		.amdhsa_fp16_overflow 0
		.amdhsa_workgroup_processor_mode 1
		.amdhsa_memory_ordered 1
		.amdhsa_forward_progress 0
		.amdhsa_shared_vgpr_count 0
		.amdhsa_exception_fp_ieee_invalid_op 0
		.amdhsa_exception_fp_denorm_src 0
		.amdhsa_exception_fp_ieee_div_zero 0
		.amdhsa_exception_fp_ieee_overflow 0
		.amdhsa_exception_fp_ieee_underflow 0
		.amdhsa_exception_fp_ieee_inexact 0
		.amdhsa_exception_int_div_zero 0
	.end_amdhsa_kernel
	.text
.Lfunc_end0:
	.size	bluestein_single_fwd_len1890_dim1_dp_op_CI_CI, .Lfunc_end0-bluestein_single_fwd_len1890_dim1_dp_op_CI_CI
                                        ; -- End function
	.section	.AMDGPU.csdata,"",@progbits
; Kernel info:
; codeLenInByte = 28420
; NumSgprs: 42
; NumVgprs: 256
; ScratchSize: 636
; MemoryBound: 0
; FloatMode: 240
; IeeeMode: 1
; LDSByteSize: 30240 bytes/workgroup (compile time only)
; SGPRBlocks: 5
; VGPRBlocks: 31
; NumSGPRsForWavesPerEU: 42
; NumVGPRsForWavesPerEU: 256
; Occupancy: 4
; WaveLimiterHint : 1
; COMPUTE_PGM_RSRC2:SCRATCH_EN: 1
; COMPUTE_PGM_RSRC2:USER_SGPR: 6
; COMPUTE_PGM_RSRC2:TRAP_HANDLER: 0
; COMPUTE_PGM_RSRC2:TGID_X_EN: 1
; COMPUTE_PGM_RSRC2:TGID_Y_EN: 0
; COMPUTE_PGM_RSRC2:TGID_Z_EN: 0
; COMPUTE_PGM_RSRC2:TIDIG_COMP_CNT: 0
	.text
	.p2alignl 6, 3214868480
	.fill 48, 4, 3214868480
	.type	__hip_cuid_e5c532a4c47bf9c2,@object ; @__hip_cuid_e5c532a4c47bf9c2
	.section	.bss,"aw",@nobits
	.globl	__hip_cuid_e5c532a4c47bf9c2
__hip_cuid_e5c532a4c47bf9c2:
	.byte	0                               ; 0x0
	.size	__hip_cuid_e5c532a4c47bf9c2, 1

	.ident	"AMD clang version 19.0.0git (https://github.com/RadeonOpenCompute/llvm-project roc-6.4.0 25133 c7fe45cf4b819c5991fe208aaa96edf142730f1d)"
	.section	".note.GNU-stack","",@progbits
	.addrsig
	.addrsig_sym __hip_cuid_e5c532a4c47bf9c2
	.amdgpu_metadata
---
amdhsa.kernels:
  - .args:
      - .actual_access:  read_only
        .address_space:  global
        .offset:         0
        .size:           8
        .value_kind:     global_buffer
      - .actual_access:  read_only
        .address_space:  global
        .offset:         8
        .size:           8
        .value_kind:     global_buffer
      - .actual_access:  read_only
        .address_space:  global
        .offset:         16
        .size:           8
        .value_kind:     global_buffer
      - .actual_access:  read_only
        .address_space:  global
        .offset:         24
        .size:           8
        .value_kind:     global_buffer
      - .actual_access:  read_only
        .address_space:  global
        .offset:         32
        .size:           8
        .value_kind:     global_buffer
      - .offset:         40
        .size:           8
        .value_kind:     by_value
      - .address_space:  global
        .offset:         48
        .size:           8
        .value_kind:     global_buffer
      - .address_space:  global
        .offset:         56
        .size:           8
        .value_kind:     global_buffer
      - .address_space:  global
        .offset:         64
        .size:           8
        .value_kind:     global_buffer
      - .address_space:  global
        .offset:         72
        .size:           8
        .value_kind:     global_buffer
      - .offset:         80
        .size:           4
        .value_kind:     by_value
      - .address_space:  global
        .offset:         88
        .size:           8
        .value_kind:     global_buffer
      - .address_space:  global
        .offset:         96
        .size:           8
        .value_kind:     global_buffer
    .group_segment_fixed_size: 30240
    .kernarg_segment_align: 8
    .kernarg_segment_size: 104
    .language:       OpenCL C
    .language_version:
      - 2
      - 0
    .max_flat_workgroup_size: 126
    .name:           bluestein_single_fwd_len1890_dim1_dp_op_CI_CI
    .private_segment_fixed_size: 636
    .sgpr_count:     42
    .sgpr_spill_count: 0
    .symbol:         bluestein_single_fwd_len1890_dim1_dp_op_CI_CI.kd
    .uniform_work_group_size: 1
    .uses_dynamic_stack: false
    .vgpr_count:     256
    .vgpr_spill_count: 178
    .wavefront_size: 32
    .workgroup_processor_mode: 1
amdhsa.target:   amdgcn-amd-amdhsa--gfx1030
amdhsa.version:
  - 1
  - 2
...

	.end_amdgpu_metadata
